;; amdgpu-corpus repo=ROCm/rocFFT kind=compiled arch=gfx906 opt=O3
	.text
	.amdgcn_target "amdgcn-amd-amdhsa--gfx906"
	.amdhsa_code_object_version 6
	.protected	fft_rtc_fwd_len578_factors_17_17_2_wgs_238_tpt_34_halfLds_sp_ip_CI_unitstride_sbrr_C2R_dirReg ; -- Begin function fft_rtc_fwd_len578_factors_17_17_2_wgs_238_tpt_34_halfLds_sp_ip_CI_unitstride_sbrr_C2R_dirReg
	.globl	fft_rtc_fwd_len578_factors_17_17_2_wgs_238_tpt_34_halfLds_sp_ip_CI_unitstride_sbrr_C2R_dirReg
	.p2align	8
	.type	fft_rtc_fwd_len578_factors_17_17_2_wgs_238_tpt_34_halfLds_sp_ip_CI_unitstride_sbrr_C2R_dirReg,@function
fft_rtc_fwd_len578_factors_17_17_2_wgs_238_tpt_34_halfLds_sp_ip_CI_unitstride_sbrr_C2R_dirReg: ; @fft_rtc_fwd_len578_factors_17_17_2_wgs_238_tpt_34_halfLds_sp_ip_CI_unitstride_sbrr_C2R_dirReg
; %bb.0:
	s_load_dwordx2 s[12:13], s[4:5], 0x50
	s_load_dwordx4 s[8:11], s[4:5], 0x0
	s_load_dwordx2 s[2:3], s[4:5], 0x18
	v_mul_u32_u24_e32 v1, 0x788, v0
	v_lshrrev_b32_e32 v1, 16, v1
	v_mad_u64_u32 v[1:2], s[0:1], s6, 7, v[1:2]
	v_mov_b32_e32 v5, 0
	s_waitcnt lgkmcnt(0)
	v_cmp_lt_u64_e64 s[0:1], s[10:11], 2
	v_mov_b32_e32 v2, v5
	v_mov_b32_e32 v3, 0
	;; [unrolled: 1-line block ×3, first 2 shown]
	s_and_b64 vcc, exec, s[0:1]
	v_mov_b32_e32 v4, 0
	v_mov_b32_e32 v9, v1
	s_cbranch_vccnz .LBB0_8
; %bb.1:
	s_load_dwordx2 s[0:1], s[4:5], 0x10
	s_add_u32 s6, s2, 8
	s_addc_u32 s7, s3, 0
	v_mov_b32_e32 v3, 0
	v_mov_b32_e32 v8, v2
	s_waitcnt lgkmcnt(0)
	s_add_u32 s16, s0, 8
	s_mov_b64 s[14:15], 1
	v_mov_b32_e32 v4, 0
	s_addc_u32 s17, s1, 0
	v_mov_b32_e32 v7, v1
.LBB0_2:                                ; =>This Inner Loop Header: Depth=1
	s_load_dwordx2 s[18:19], s[16:17], 0x0
                                        ; implicit-def: $vgpr9_vgpr10
	s_waitcnt lgkmcnt(0)
	v_or_b32_e32 v6, s19, v8
	v_cmp_ne_u64_e32 vcc, 0, v[5:6]
	s_and_saveexec_b64 s[0:1], vcc
	s_xor_b64 s[20:21], exec, s[0:1]
	s_cbranch_execz .LBB0_4
; %bb.3:                                ;   in Loop: Header=BB0_2 Depth=1
	v_cvt_f32_u32_e32 v2, s18
	v_cvt_f32_u32_e32 v6, s19
	s_sub_u32 s0, 0, s18
	s_subb_u32 s1, 0, s19
	v_mac_f32_e32 v2, 0x4f800000, v6
	v_rcp_f32_e32 v2, v2
	v_mul_f32_e32 v2, 0x5f7ffffc, v2
	v_mul_f32_e32 v6, 0x2f800000, v2
	v_trunc_f32_e32 v6, v6
	v_mac_f32_e32 v2, 0xcf800000, v6
	v_cvt_u32_f32_e32 v6, v6
	v_cvt_u32_f32_e32 v2, v2
	v_mul_lo_u32 v9, s0, v6
	v_mul_hi_u32 v10, s0, v2
	v_mul_lo_u32 v12, s1, v2
	v_mul_lo_u32 v11, s0, v2
	v_add_u32_e32 v9, v10, v9
	v_add_u32_e32 v9, v9, v12
	v_mul_hi_u32 v10, v2, v11
	v_mul_lo_u32 v12, v2, v9
	v_mul_hi_u32 v14, v2, v9
	v_mul_hi_u32 v13, v6, v11
	v_mul_lo_u32 v11, v6, v11
	v_mul_hi_u32 v15, v6, v9
	v_add_co_u32_e32 v10, vcc, v10, v12
	v_addc_co_u32_e32 v12, vcc, 0, v14, vcc
	v_mul_lo_u32 v9, v6, v9
	v_add_co_u32_e32 v10, vcc, v10, v11
	v_addc_co_u32_e32 v10, vcc, v12, v13, vcc
	v_addc_co_u32_e32 v11, vcc, 0, v15, vcc
	v_add_co_u32_e32 v9, vcc, v10, v9
	v_addc_co_u32_e32 v10, vcc, 0, v11, vcc
	v_add_co_u32_e32 v2, vcc, v2, v9
	v_addc_co_u32_e32 v6, vcc, v6, v10, vcc
	v_mul_lo_u32 v9, s0, v6
	v_mul_hi_u32 v10, s0, v2
	v_mul_lo_u32 v11, s1, v2
	v_mul_lo_u32 v12, s0, v2
	v_add_u32_e32 v9, v10, v9
	v_add_u32_e32 v9, v9, v11
	v_mul_lo_u32 v13, v2, v9
	v_mul_hi_u32 v14, v2, v12
	v_mul_hi_u32 v15, v2, v9
	;; [unrolled: 1-line block ×3, first 2 shown]
	v_mul_lo_u32 v12, v6, v12
	v_mul_hi_u32 v10, v6, v9
	v_add_co_u32_e32 v13, vcc, v14, v13
	v_addc_co_u32_e32 v14, vcc, 0, v15, vcc
	v_mul_lo_u32 v9, v6, v9
	v_add_co_u32_e32 v12, vcc, v13, v12
	v_addc_co_u32_e32 v11, vcc, v14, v11, vcc
	v_addc_co_u32_e32 v10, vcc, 0, v10, vcc
	v_add_co_u32_e32 v9, vcc, v11, v9
	v_addc_co_u32_e32 v10, vcc, 0, v10, vcc
	v_add_co_u32_e32 v2, vcc, v2, v9
	v_addc_co_u32_e32 v6, vcc, v6, v10, vcc
	v_mad_u64_u32 v[9:10], s[0:1], v7, v6, 0
	v_mul_hi_u32 v11, v7, v2
	v_add_co_u32_e32 v13, vcc, v11, v9
	v_addc_co_u32_e32 v14, vcc, 0, v10, vcc
	v_mad_u64_u32 v[9:10], s[0:1], v8, v2, 0
	v_mad_u64_u32 v[11:12], s[0:1], v8, v6, 0
	v_add_co_u32_e32 v2, vcc, v13, v9
	v_addc_co_u32_e32 v2, vcc, v14, v10, vcc
	v_addc_co_u32_e32 v6, vcc, 0, v12, vcc
	v_add_co_u32_e32 v2, vcc, v2, v11
	v_addc_co_u32_e32 v6, vcc, 0, v6, vcc
	v_mul_lo_u32 v11, s19, v2
	v_mul_lo_u32 v12, s18, v6
	v_mad_u64_u32 v[9:10], s[0:1], s18, v2, 0
	v_add3_u32 v10, v10, v12, v11
	v_sub_u32_e32 v11, v8, v10
	v_mov_b32_e32 v12, s19
	v_sub_co_u32_e32 v9, vcc, v7, v9
	v_subb_co_u32_e64 v11, s[0:1], v11, v12, vcc
	v_subrev_co_u32_e64 v12, s[0:1], s18, v9
	v_subbrev_co_u32_e64 v11, s[0:1], 0, v11, s[0:1]
	v_cmp_le_u32_e64 s[0:1], s19, v11
	v_cndmask_b32_e64 v13, 0, -1, s[0:1]
	v_cmp_le_u32_e64 s[0:1], s18, v12
	v_cndmask_b32_e64 v12, 0, -1, s[0:1]
	v_cmp_eq_u32_e64 s[0:1], s19, v11
	v_cndmask_b32_e64 v11, v13, v12, s[0:1]
	v_add_co_u32_e64 v12, s[0:1], 2, v2
	v_addc_co_u32_e64 v13, s[0:1], 0, v6, s[0:1]
	v_add_co_u32_e64 v14, s[0:1], 1, v2
	v_addc_co_u32_e64 v15, s[0:1], 0, v6, s[0:1]
	v_subb_co_u32_e32 v10, vcc, v8, v10, vcc
	v_cmp_ne_u32_e64 s[0:1], 0, v11
	v_cmp_le_u32_e32 vcc, s19, v10
	v_cndmask_b32_e64 v11, v15, v13, s[0:1]
	v_cndmask_b32_e64 v13, 0, -1, vcc
	v_cmp_le_u32_e32 vcc, s18, v9
	v_cndmask_b32_e64 v9, 0, -1, vcc
	v_cmp_eq_u32_e32 vcc, s19, v10
	v_cndmask_b32_e32 v9, v13, v9, vcc
	v_cmp_ne_u32_e32 vcc, 0, v9
	v_cndmask_b32_e32 v10, v6, v11, vcc
	v_cndmask_b32_e64 v6, v14, v12, s[0:1]
	v_cndmask_b32_e32 v9, v2, v6, vcc
.LBB0_4:                                ;   in Loop: Header=BB0_2 Depth=1
	s_andn2_saveexec_b64 s[0:1], s[20:21]
	s_cbranch_execz .LBB0_6
; %bb.5:                                ;   in Loop: Header=BB0_2 Depth=1
	v_cvt_f32_u32_e32 v2, s18
	s_sub_i32 s20, 0, s18
	v_rcp_iflag_f32_e32 v2, v2
	v_mul_f32_e32 v2, 0x4f7ffffe, v2
	v_cvt_u32_f32_e32 v2, v2
	v_mul_lo_u32 v6, s20, v2
	v_mul_hi_u32 v6, v2, v6
	v_add_u32_e32 v2, v2, v6
	v_mul_hi_u32 v2, v7, v2
	v_mul_lo_u32 v6, v2, s18
	v_add_u32_e32 v9, 1, v2
	v_sub_u32_e32 v6, v7, v6
	v_subrev_u32_e32 v10, s18, v6
	v_cmp_le_u32_e32 vcc, s18, v6
	v_cndmask_b32_e32 v6, v6, v10, vcc
	v_cndmask_b32_e32 v2, v2, v9, vcc
	v_add_u32_e32 v9, 1, v2
	v_cmp_le_u32_e32 vcc, s18, v6
	v_cndmask_b32_e32 v9, v2, v9, vcc
	v_mov_b32_e32 v10, v5
.LBB0_6:                                ;   in Loop: Header=BB0_2 Depth=1
	s_or_b64 exec, exec, s[0:1]
	v_mul_lo_u32 v2, v10, s18
	v_mul_lo_u32 v6, v9, s19
	v_mad_u64_u32 v[11:12], s[0:1], v9, s18, 0
	s_load_dwordx2 s[0:1], s[6:7], 0x0
	s_add_u32 s14, s14, 1
	v_add3_u32 v2, v12, v6, v2
	v_sub_co_u32_e32 v6, vcc, v7, v11
	v_subb_co_u32_e32 v2, vcc, v8, v2, vcc
	s_waitcnt lgkmcnt(0)
	v_mul_lo_u32 v2, s0, v2
	v_mul_lo_u32 v7, s1, v6
	v_mad_u64_u32 v[3:4], s[0:1], s0, v6, v[3:4]
	s_addc_u32 s15, s15, 0
	s_add_u32 s6, s6, 8
	v_add3_u32 v4, v7, v4, v2
	v_mov_b32_e32 v6, s10
	v_mov_b32_e32 v7, s11
	s_addc_u32 s7, s7, 0
	v_cmp_ge_u64_e32 vcc, s[14:15], v[6:7]
	s_add_u32 s16, s16, 8
	s_addc_u32 s17, s17, 0
	s_cbranch_vccnz .LBB0_8
; %bb.7:                                ;   in Loop: Header=BB0_2 Depth=1
	v_mov_b32_e32 v7, v9
	v_mov_b32_e32 v8, v10
	s_branch .LBB0_2
.LBB0_8:
	s_lshl_b64 s[0:1], s[10:11], 3
	s_add_u32 s0, s2, s0
	s_addc_u32 s1, s3, s1
	s_load_dwordx2 s[2:3], s[0:1], 0x0
	s_load_dwordx2 s[6:7], s[4:5], 0x20
	s_mov_b32 s0, 0x24924925
	v_mul_hi_u32 v5, v1, s0
	s_waitcnt lgkmcnt(0)
	v_mad_u64_u32 v[2:3], s[0:1], s2, v9, v[3:4]
	v_sub_u32_e32 v4, v1, v5
	v_lshrrev_b32_e32 v4, 1, v4
	v_add_u32_e32 v4, v4, v5
	v_lshrrev_b32_e32 v4, 2, v4
	v_mul_lo_u32 v4, v4, 7
	s_mov_b32 s0, 0x7878788
	v_mul_lo_u32 v6, s2, v10
	v_mul_lo_u32 v7, s3, v9
	v_mul_hi_u32 v5, v0, s0
	v_sub_u32_e32 v1, v1, v4
	v_mul_u32_u24_e32 v37, 0x243, v1
	v_add3_u32 v3, v7, v3, v6
	v_mul_u32_u24_e32 v1, 34, v5
	v_cmp_gt_u64_e64 s[0:1], s[6:7], v[9:10]
	v_sub_u32_e32 v0, v0, v1
	v_lshlrev_b64 v[30:31], 3, v[2:3]
	v_mov_b32_e32 v1, 0
	v_lshlrev_b32_e32 v21, 3, v37
	v_mov_b32_e32 v28, v0
	s_and_saveexec_b64 s[2:3], s[0:1]
	s_cbranch_execz .LBB0_12
; %bb.9:
	v_mov_b32_e32 v2, s13
	v_add_co_u32_e32 v4, vcc, s12, v30
	v_lshlrev_b64 v[5:6], 3, v[0:1]
	v_addc_co_u32_e32 v3, vcc, v2, v31, vcc
	v_add_co_u32_e32 v5, vcc, v4, v5
	v_addc_co_u32_e32 v6, vcc, v3, v6, vcc
	v_add_co_u32_e32 v34, vcc, 0x1000, v5
	global_load_dwordx2 v[7:8], v[5:6], off
	global_load_dwordx2 v[9:10], v[5:6], off offset:272
	global_load_dwordx2 v[11:12], v[5:6], off offset:544
	;; [unrolled: 1-line block ×11, first 2 shown]
	v_addc_co_u32_e32 v35, vcc, 0, v6, vcc
	global_load_dwordx2 v[38:39], v[5:6], off offset:3264
	global_load_dwordx2 v[40:41], v[5:6], off offset:3536
	;; [unrolled: 1-line block ×5, first 2 shown]
	v_lshlrev_b32_e32 v2, 3, v0
	v_add3_u32 v5, 0, v21, v2
	v_add_u32_e32 v2, 0x800, v5
	v_cmp_eq_u32_e32 vcc, 33, v0
	s_waitcnt vmcnt(15)
	ds_write2_b64 v5, v[7:8], v[9:10] offset1:34
	s_waitcnt vmcnt(13)
	ds_write2_b64 v5, v[11:12], v[13:14] offset0:68 offset1:102
	s_waitcnt vmcnt(11)
	ds_write2_b64 v5, v[15:16], v[17:18] offset0:136 offset1:170
	;; [unrolled: 2-line block ×7, first 2 shown]
	s_waitcnt vmcnt(0)
	ds_write_b64 v5, v[46:47] offset:4352
	v_mov_b32_e32 v2, v1
	v_mov_b32_e32 v1, v0
	s_and_saveexec_b64 s[4:5], vcc
	s_cbranch_execz .LBB0_11
; %bb.10:
	v_add_co_u32_e32 v0, vcc, 0x1000, v4
	v_addc_co_u32_e32 v1, vcc, 0, v3, vcc
	global_load_dwordx2 v[3:4], v[0:1], off offset:528
	v_mov_b32_e32 v1, 33
	v_mov_b32_e32 v2, 0
	;; [unrolled: 1-line block ×3, first 2 shown]
	s_waitcnt vmcnt(0)
	ds_write_b64 v5, v[3:4] offset:4360
.LBB0_11:
	s_or_b64 exec, exec, s[4:5]
	v_mov_b32_e32 v28, v0
	v_mov_b32_e32 v0, v1
	;; [unrolled: 1-line block ×3, first 2 shown]
.LBB0_12:
	s_or_b64 exec, exec, s[2:3]
	v_lshl_add_u32 v46, v37, 3, 0
	v_lshlrev_b32_e32 v2, 3, v28
	v_add_u32_e32 v40, v46, v2
	s_waitcnt lgkmcnt(0)
	s_barrier
	v_sub_u32_e32 v4, v46, v2
	ds_read_b32 v5, v40
	ds_read_b32 v6, v4 offset:4624
	s_add_u32 s4, s8, 0x1188
	v_lshlrev_b64 v[32:33], 3, v[0:1]
	s_addc_u32 s5, s9, 0
	v_cmp_ne_u32_e32 vcc, 0, v28
	s_waitcnt lgkmcnt(0)
	v_add_f32_e32 v2, v6, v5
	v_sub_f32_e32 v3, v5, v6
	s_and_saveexec_b64 s[2:3], vcc
	s_xor_b64 s[2:3], exec, s[2:3]
	s_cbranch_execz .LBB0_14
; %bb.13:
	v_mov_b32_e32 v1, s5
	v_add_co_u32_e32 v0, vcc, s4, v32
	v_addc_co_u32_e32 v1, vcc, v1, v33, vcc
	global_load_dwordx2 v[0:1], v[0:1], off
	ds_read_b32 v2, v4 offset:4628
	ds_read_b32 v3, v40 offset:4
	v_add_f32_e32 v7, v6, v5
	v_sub_f32_e32 v8, v5, v6
	s_waitcnt lgkmcnt(0)
	v_add_f32_e32 v9, v2, v3
	v_sub_f32_e32 v2, v3, v2
	s_waitcnt vmcnt(0)
	v_fma_f32 v5, -v8, v1, v7
	v_fma_f32 v6, v9, v1, -v2
	v_fma_f32 v10, v8, v1, v7
	v_fma_f32 v3, v9, v1, v2
	v_fmac_f32_e32 v5, v0, v9
	v_fmac_f32_e32 v6, v8, v0
	v_fma_f32 v2, -v0, v9, v10
	v_fmac_f32_e32 v3, v8, v0
	ds_write_b64 v4, v[5:6] offset:4624
.LBB0_14:
	s_andn2_saveexec_b64 s[2:3], s[2:3]
	s_cbranch_execz .LBB0_16
; %bb.15:
	ds_read_b64 v[0:1], v46 offset:2312
	s_waitcnt lgkmcnt(0)
	v_add_f32_e32 v0, v0, v0
	v_mul_f32_e32 v1, -2.0, v1
	ds_write_b64 v46, v[0:1] offset:2312
.LBB0_16:
	s_or_b64 exec, exec, s[2:3]
	v_mov_b32_e32 v29, 0
	v_lshlrev_b64 v[34:35], 3, v[28:29]
	v_mov_b32_e32 v1, s5
	v_add_co_u32_e32 v0, vcc, s4, v34
	v_addc_co_u32_e32 v1, vcc, v1, v35, vcc
	global_load_dwordx2 v[5:6], v[0:1], off offset:272
	global_load_dwordx2 v[7:8], v[0:1], off offset:544
	;; [unrolled: 1-line block ×4, first 2 shown]
	ds_write_b64 v40, v[2:3]
	ds_read_b64 v[2:3], v40 offset:272
	ds_read_b64 v[13:14], v4 offset:4352
	global_load_dwordx2 v[15:16], v[0:1], off offset:1360
	v_cmp_gt_u32_e32 vcc, 17, v28
	s_waitcnt lgkmcnt(0)
	v_add_f32_e32 v17, v2, v13
	v_add_f32_e32 v18, v14, v3
	v_sub_f32_e32 v19, v2, v13
	v_sub_f32_e32 v13, v3, v14
	s_waitcnt vmcnt(4)
	v_fma_f32 v20, v19, v6, v17
	v_fma_f32 v14, v18, v6, v13
	v_fma_f32 v2, -v19, v6, v17
	v_fma_f32 v3, v18, v6, -v13
	v_fma_f32 v13, -v5, v18, v20
	v_fmac_f32_e32 v14, v19, v5
	v_fmac_f32_e32 v2, v5, v18
	;; [unrolled: 1-line block ×3, first 2 shown]
	ds_write_b64 v40, v[13:14] offset:272
	ds_write_b64 v4, v[2:3] offset:4352
	ds_read_b64 v[2:3], v40 offset:544
	ds_read_b64 v[5:6], v4 offset:4080
	global_load_dwordx2 v[13:14], v[0:1], off offset:1632
	s_waitcnt lgkmcnt(0)
	v_add_f32_e32 v17, v2, v5
	v_add_f32_e32 v18, v6, v3
	v_sub_f32_e32 v19, v2, v5
	v_sub_f32_e32 v5, v3, v6
	s_waitcnt vmcnt(4)
	v_fma_f32 v20, v19, v8, v17
	v_fma_f32 v6, v18, v8, v5
	v_fma_f32 v2, -v19, v8, v17
	v_fma_f32 v3, v18, v8, -v5
	v_fma_f32 v5, -v7, v18, v20
	v_fmac_f32_e32 v6, v19, v7
	v_fmac_f32_e32 v2, v7, v18
	v_fmac_f32_e32 v3, v19, v7
	ds_write_b64 v40, v[5:6] offset:544
	ds_write_b64 v4, v[2:3] offset:4080
	ds_read_b64 v[2:3], v40 offset:816
	ds_read_b64 v[5:6], v4 offset:3808
	global_load_dwordx2 v[7:8], v[0:1], off offset:1904
	s_waitcnt lgkmcnt(0)
	v_add_f32_e32 v17, v2, v5
	v_add_f32_e32 v18, v6, v3
	v_sub_f32_e32 v19, v2, v5
	v_sub_f32_e32 v2, v3, v6
	s_waitcnt vmcnt(4)
	v_fma_f32 v20, v19, v10, v17
	v_fma_f32 v3, v18, v10, v2
	v_fma_f32 v5, -v19, v10, v17
	v_fma_f32 v6, v18, v10, -v2
	v_fma_f32 v2, -v9, v18, v20
	v_fmac_f32_e32 v3, v19, v9
	v_fmac_f32_e32 v5, v9, v18
	v_fmac_f32_e32 v6, v19, v9
	ds_write_b64 v40, v[2:3] offset:816
	ds_write_b64 v4, v[5:6] offset:3808
	ds_read_b64 v[2:3], v40 offset:1088
	ds_read_b64 v[5:6], v4 offset:3536
	s_waitcnt lgkmcnt(0)
	v_add_f32_e32 v9, v2, v5
	v_add_f32_e32 v10, v6, v3
	v_sub_f32_e32 v17, v2, v5
	v_sub_f32_e32 v2, v3, v6
	s_waitcnt vmcnt(3)
	v_fma_f32 v18, v17, v12, v9
	v_fma_f32 v3, v10, v12, v2
	v_fma_f32 v5, -v17, v12, v9
	v_fma_f32 v6, v10, v12, -v2
	v_fma_f32 v2, -v11, v10, v18
	v_fmac_f32_e32 v3, v17, v11
	v_fmac_f32_e32 v5, v11, v10
	v_fmac_f32_e32 v6, v17, v11
	ds_write_b64 v40, v[2:3] offset:1088
	ds_write_b64 v4, v[5:6] offset:3536
	ds_read_b64 v[2:3], v40 offset:1360
	ds_read_b64 v[5:6], v4 offset:3264
	;; [unrolled: 18-line block ×4, first 2 shown]
	s_waitcnt lgkmcnt(0)
	v_add_f32_e32 v9, v2, v5
	v_add_f32_e32 v10, v6, v3
	v_sub_f32_e32 v11, v2, v5
	v_sub_f32_e32 v2, v3, v6
	s_waitcnt vmcnt(0)
	v_fma_f32 v12, v11, v8, v9
	v_fma_f32 v3, v10, v8, v2
	v_fma_f32 v5, -v11, v8, v9
	v_fma_f32 v6, v10, v8, -v2
	v_fma_f32 v2, -v7, v10, v12
	v_fmac_f32_e32 v3, v11, v7
	v_fmac_f32_e32 v5, v7, v10
	;; [unrolled: 1-line block ×3, first 2 shown]
	ds_write_b64 v40, v[2:3] offset:1904
	ds_write_b64 v4, v[5:6] offset:2720
	s_and_saveexec_b64 s[2:3], vcc
	s_cbranch_execz .LBB0_18
; %bb.17:
	global_load_dwordx2 v[0:1], v[0:1], off offset:2176
	ds_read_b64 v[2:3], v40 offset:2176
	ds_read_b64 v[5:6], v4 offset:2448
	s_waitcnt lgkmcnt(0)
	v_add_f32_e32 v7, v2, v5
	v_add_f32_e32 v8, v6, v3
	v_sub_f32_e32 v9, v2, v5
	v_sub_f32_e32 v3, v3, v6
	s_waitcnt vmcnt(0)
	v_fma_f32 v10, v9, v1, v7
	v_fma_f32 v2, v8, v1, v3
	v_fma_f32 v5, -v9, v1, v7
	v_fma_f32 v6, v8, v1, -v3
	v_fma_f32 v1, -v0, v8, v10
	v_fmac_f32_e32 v2, v9, v0
	v_fmac_f32_e32 v5, v0, v8
	;; [unrolled: 1-line block ×3, first 2 shown]
	ds_write_b64 v40, v[1:2] offset:2176
	ds_write_b64 v4, v[5:6] offset:2448
.LBB0_18:
	s_or_b64 exec, exec, s[2:3]
	s_waitcnt lgkmcnt(0)
	s_barrier
	s_barrier
	ds_read_b64 v[18:19], v40
	v_lshl_add_u32 v48, v28, 3, 0
	v_add_u32_e32 v47, v48, v21
	ds_read2_b64 v[41:44], v47 offset0:34 offset1:68
	ds_read2_b64 v[56:59], v47 offset0:102 offset1:136
	;; [unrolled: 1-line block ×3, first 2 shown]
	v_add_u32_e32 v20, 0x400, v47
	ds_read2_b64 v[0:3], v20 offset0:110 offset1:144
	s_waitcnt lgkmcnt(3)
	v_add_f32_e32 v16, v18, v41
	v_add_f32_e32 v17, v19, v42
	;; [unrolled: 1-line block ×4, first 2 shown]
	s_waitcnt lgkmcnt(2)
	v_add_f32_e32 v16, v16, v56
	v_add_f32_e32 v17, v17, v57
	;; [unrolled: 1-line block ×4, first 2 shown]
	v_add_u32_e32 v24, 0x800, v47
	s_waitcnt lgkmcnt(1)
	v_add_f32_e32 v16, v16, v8
	v_add_f32_e32 v17, v17, v9
	ds_read2_b64 v[4:7], v24 offset0:50 offset1:84
	ds_read2_b64 v[12:15], v24 offset0:118 offset1:152
	;; [unrolled: 1-line block ×3, first 2 shown]
	v_add_f32_e32 v16, v16, v10
	v_add_f32_e32 v17, v17, v11
	s_waitcnt lgkmcnt(3)
	v_add_f32_e32 v16, v16, v0
	v_add_f32_e32 v17, v17, v1
	v_add_u32_e32 v22, 0xc00, v47
	v_add_f32_e32 v16, v16, v2
	v_add_f32_e32 v17, v17, v3
	ds_read2_b64 v[64:67], v22 offset0:126 offset1:160
	s_waitcnt lgkmcnt(3)
	v_add_f32_e32 v16, v16, v4
	v_add_f32_e32 v17, v17, v5
	v_add_f32_e32 v16, v16, v6
	v_add_f32_e32 v17, v17, v7
	s_waitcnt lgkmcnt(2)
	v_add_f32_e32 v16, v16, v12
	v_add_f32_e32 v17, v17, v13
	v_add_f32_e32 v16, v16, v14
	v_add_f32_e32 v17, v17, v15
	;; [unrolled: 5-line block ×3, first 2 shown]
	s_waitcnt lgkmcnt(0)
	v_sub_f32_e32 v55, v42, v67
	v_add_f32_e32 v16, v16, v64
	v_add_f32_e32 v17, v17, v65
	v_add_f32_e32 v54, v66, v41
	v_add_f32_e32 v50, v67, v42
	v_sub_f32_e32 v53, v41, v66
	v_mul_f32_e32 v51, 0xbeb8f4ab, v55
	s_mov_b32 s4, 0x3f6eb680
	v_add_f32_e32 v25, v64, v43
	v_add_f32_e32 v23, v65, v44
	v_sub_f32_e32 v36, v43, v64
	v_sub_f32_e32 v41, v44, v65
	v_add_f32_e32 v27, v62, v56
	v_add_f32_e32 v26, v63, v57
	v_sub_f32_e32 v42, v56, v62
	v_sub_f32_e32 v45, v57, v63
	v_add_f32_e32 v38, v61, v59
	v_sub_f32_e32 v52, v59, v61
	v_add_f32_e32 v43, v15, v9
	v_sub_f32_e32 v15, v9, v15
	v_add_f32_e32 v9, v12, v10
	v_sub_f32_e32 v10, v10, v12
	v_add_f32_e32 v12, v7, v1
	v_sub_f32_e32 v1, v1, v7
	v_add_f32_e32 v56, v5, v3
	v_sub_f32_e32 v59, v3, v5
	v_mul_f32_e32 v3, 0xbf2c7751, v55
	s_mov_b32 s10, 0x3f3d2fb0
	v_mul_f32_e32 v5, 0xbf65296c, v55
	s_mov_b32 s7, 0x3ee437d1
	;; [unrolled: 2-line block ×3, first 2 shown]
	s_mov_b32 s6, 0xbe8c1d8e
	v_mul_f32_e32 v61, 0xbf763a35, v55
	s_mov_b32 s11, 0xbf1a4643
	v_mul_f32_e32 v63, 0xbf4c4adb, v55
	;; [unrolled: 2-line block ×3, first 2 shown]
	v_mul_f32_e32 v55, 0xbe3c28d5, v55
	s_mov_b32 s15, 0xbf7ba420
	v_add_f32_e32 v16, v16, v66
	v_add_f32_e32 v17, v17, v67
	;; [unrolled: 1-line block ×3, first 2 shown]
	v_sub_f32_e32 v49, v58, v60
	v_add_f32_e32 v44, v14, v8
	v_sub_f32_e32 v14, v8, v14
	v_add_f32_e32 v8, v13, v11
	;; [unrolled: 2-line block ×4, first 2 shown]
	v_sub_f32_e32 v58, v2, v4
	v_fma_f32 v2, v54, s4, -v51
	v_fmac_f32_e32 v51, 0x3f6eb680, v54
	v_fma_f32 v4, v54, s10, -v3
	v_fmac_f32_e32 v3, 0x3f3d2fb0, v54
	;; [unrolled: 2-line block ×8, first 2 shown]
	v_mul_f32_e32 v54, 0xbeb8f4ab, v53
	v_mul_f32_e32 v69, 0xbf2c7751, v53
	;; [unrolled: 1-line block ×8, first 2 shown]
	v_mov_b32_e32 v68, v54
	v_mov_b32_e32 v70, v69
	;; [unrolled: 1-line block ×8, first 2 shown]
	v_fmac_f32_e32 v68, 0x3f6eb680, v50
	v_fma_f32 v54, v50, s4, -v54
	v_fmac_f32_e32 v70, 0x3f3d2fb0, v50
	v_fma_f32 v69, v50, s10, -v69
	;; [unrolled: 2-line block ×8, first 2 shown]
	v_add_f32_e32 v53, v19, v68
	v_add_f32_e32 v54, v19, v54
	v_add_f32_e32 v68, v19, v70
	v_add_f32_e32 v69, v19, v69
	v_add_f32_e32 v70, v19, v72
	v_add_f32_e32 v71, v19, v71
	v_add_f32_e32 v72, v19, v74
	v_add_f32_e32 v73, v19, v73
	v_add_f32_e32 v74, v19, v76
	v_add_f32_e32 v75, v19, v75
	v_add_f32_e32 v76, v19, v78
	v_add_f32_e32 v77, v19, v77
	v_add_f32_e32 v78, v19, v80
	v_add_f32_e32 v79, v19, v79
	v_add_f32_e32 v80, v19, v81
	v_add_f32_e32 v19, v19, v50
	v_mul_f32_e32 v50, 0xbf2c7751, v41
	v_add_f32_e32 v2, v18, v2
	v_add_f32_e32 v51, v18, v51
	;; [unrolled: 1-line block ×16, first 2 shown]
	v_fma_f32 v55, v25, s10, -v50
	v_add_f32_e32 v2, v55, v2
	v_mul_f32_e32 v55, 0xbf2c7751, v36
	v_fmac_f32_e32 v50, 0x3f3d2fb0, v25
	v_add_f32_e32 v50, v50, v51
	v_fma_f32 v51, v23, s10, -v55
	v_add_f32_e32 v51, v51, v54
	v_mul_f32_e32 v54, 0xbf7ee86f, v41
	v_mov_b32_e32 v81, v55
	v_fma_f32 v55, v25, s5, -v54
	v_fmac_f32_e32 v81, 0x3f3d2fb0, v23
	v_add_f32_e32 v4, v55, v4
	v_mul_f32_e32 v55, 0xbf7ee86f, v36
	v_fmac_f32_e32 v54, 0x3dbcf732, v25
	v_add_f32_e32 v53, v81, v53
	v_mov_b32_e32 v81, v55
	v_add_f32_e32 v3, v54, v3
	v_fma_f32 v54, v23, s5, -v55
	v_mul_f32_e32 v55, 0xbf4c4adb, v41
	v_add_f32_e32 v54, v54, v69
	v_fma_f32 v69, v25, s11, -v55
	v_fmac_f32_e32 v81, 0x3dbcf732, v23
	v_add_f32_e32 v6, v69, v6
	v_mul_f32_e32 v69, 0xbf4c4adb, v36
	v_fmac_f32_e32 v55, 0xbf1a4643, v25
	v_add_f32_e32 v68, v81, v68
	v_mov_b32_e32 v81, v69
	v_add_f32_e32 v5, v55, v5
	v_fma_f32 v55, v23, s11, -v69
	v_mul_f32_e32 v69, 0xbe3c28d5, v41
	v_add_f32_e32 v55, v55, v71
	;; [unrolled: 11-line block ×5, first 2 shown]
	v_fma_f32 v77, v25, s7, -v75
	v_fmac_f32_e32 v81, 0xbe8c1d8e, v23
	v_add_f32_e32 v66, v77, v66
	v_mul_f32_e32 v77, 0x3f65296c, v36
	v_fmac_f32_e32 v75, 0x3ee437d1, v25
	v_mul_f32_e32 v41, 0x3eb8f4ab, v41
	v_add_f32_e32 v76, v81, v76
	v_mov_b32_e32 v81, v77
	v_add_f32_e32 v65, v75, v65
	v_fma_f32 v75, v23, s7, -v77
	v_fma_f32 v77, v25, s4, -v41
	v_mul_f32_e32 v36, 0x3eb8f4ab, v36
	v_add_f32_e32 v67, v77, v67
	v_mov_b32_e32 v77, v36
	v_fmac_f32_e32 v81, 0x3ee437d1, v23
	v_fmac_f32_e32 v77, 0x3f6eb680, v23
	v_fma_f32 v23, v23, s4, -v36
	v_fmac_f32_e32 v41, 0x3f6eb680, v25
	v_add_f32_e32 v19, v23, v19
	v_mul_f32_e32 v23, 0xbf65296c, v45
	v_add_f32_e32 v18, v41, v18
	v_fma_f32 v25, v27, s7, -v23
	v_fmac_f32_e32 v23, 0x3ee437d1, v27
	v_mul_f32_e32 v41, 0xbf4c4adb, v45
	v_add_f32_e32 v2, v25, v2
	v_mul_f32_e32 v25, 0xbf65296c, v42
	v_add_f32_e32 v23, v23, v50
	v_fma_f32 v50, v27, s11, -v41
	v_mov_b32_e32 v36, v25
	v_fma_f32 v25, v26, s7, -v25
	v_add_f32_e32 v4, v50, v4
	v_mul_f32_e32 v50, 0xbf4c4adb, v42
	v_fmac_f32_e32 v41, 0xbf1a4643, v27
	v_fmac_f32_e32 v36, 0x3ee437d1, v26
	v_add_f32_e32 v25, v25, v51
	v_mov_b32_e32 v51, v50
	v_add_f32_e32 v3, v41, v3
	v_fma_f32 v41, v26, s11, -v50
	v_mul_f32_e32 v50, 0x3e3c28d5, v45
	v_add_f32_e32 v36, v36, v53
	v_fma_f32 v53, v27, s15, -v50
	v_add_f32_e32 v6, v53, v6
	v_mul_f32_e32 v53, 0x3e3c28d5, v42
	v_fmac_f32_e32 v50, 0xbf7ba420, v27
	v_add_f32_e32 v41, v41, v54
	v_mov_b32_e32 v54, v53
	v_add_f32_e32 v5, v50, v5
	v_fma_f32 v50, v26, s15, -v53
	v_mul_f32_e32 v53, 0x3f763a35, v45
	v_add_f32_e32 v50, v50, v55
	v_fma_f32 v55, v27, s6, -v53
	v_fmac_f32_e32 v51, 0xbf1a4643, v26
	v_add_f32_e32 v55, v55, v60
	v_mul_f32_e32 v60, 0x3f763a35, v42
	v_fmac_f32_e32 v53, 0xbe8c1d8e, v27
	v_add_f32_e32 v51, v51, v68
	v_mov_b32_e32 v68, v60
	v_add_f32_e32 v7, v53, v7
	v_fma_f32 v53, v26, s6, -v60
	v_mul_f32_e32 v60, 0x3f2c7751, v45
	v_add_f32_e32 v53, v53, v69
	v_fma_f32 v69, v27, s10, -v60
	v_fmac_f32_e32 v54, 0xbf7ba420, v26
	;; [unrolled: 11-line block ×4, first 2 shown]
	v_add_f32_e32 v66, v73, v66
	v_mul_f32_e32 v73, 0xbf7ee86f, v42
	v_fmac_f32_e32 v71, 0x3dbcf732, v27
	v_mul_f32_e32 v45, 0xbf06c442, v45
	v_add_f32_e32 v70, v70, v74
	v_mov_b32_e32 v74, v73
	v_add_f32_e32 v65, v71, v65
	v_fma_f32 v71, v26, s5, -v73
	v_fma_f32 v73, v27, s14, -v45
	v_mul_f32_e32 v42, 0xbf06c442, v42
	v_add_f32_e32 v67, v73, v67
	v_mov_b32_e32 v73, v42
	v_fmac_f32_e32 v72, 0x3f6eb680, v26
	v_fmac_f32_e32 v74, 0x3dbcf732, v26
	;; [unrolled: 1-line block ×3, first 2 shown]
	v_fma_f32 v26, v26, s14, -v42
	v_add_f32_e32 v19, v26, v19
	v_mul_f32_e32 v26, 0xbf7ee86f, v52
	v_fmac_f32_e32 v45, 0xbf59a7d5, v27
	v_fma_f32 v27, v39, s5, -v26
	v_add_f32_e32 v2, v27, v2
	v_mul_f32_e32 v27, 0xbf7ee86f, v49
	v_fmac_f32_e32 v26, 0x3dbcf732, v39
	v_add_f32_e32 v23, v26, v23
	v_fma_f32 v26, v38, s5, -v27
	v_add_f32_e32 v25, v26, v25
	v_mul_f32_e32 v26, 0xbe3c28d5, v52
	v_mov_b32_e32 v42, v27
	v_fma_f32 v27, v39, s15, -v26
	v_fmac_f32_e32 v42, 0x3dbcf732, v38
	v_add_f32_e32 v4, v27, v4
	v_mul_f32_e32 v27, 0xbe3c28d5, v49
	v_fmac_f32_e32 v26, 0xbf7ba420, v39
	v_add_f32_e32 v36, v42, v36
	v_mov_b32_e32 v42, v27
	v_add_f32_e32 v3, v26, v3
	v_fma_f32 v26, v38, s15, -v27
	v_mul_f32_e32 v27, 0x3f763a35, v52
	v_add_f32_e32 v26, v26, v41
	v_fma_f32 v41, v39, s6, -v27
	v_add_f32_e32 v6, v41, v6
	v_mul_f32_e32 v41, 0x3f763a35, v49
	v_fmac_f32_e32 v27, 0xbe8c1d8e, v39
	v_add_f32_e32 v18, v45, v18
	v_fmac_f32_e32 v42, 0xbf7ba420, v38
	v_mov_b32_e32 v45, v41
	v_add_f32_e32 v5, v27, v5
	v_fma_f32 v27, v38, s6, -v41
	v_mul_f32_e32 v41, 0x3eb8f4ab, v52
	v_add_f32_e32 v42, v42, v51
	v_fmac_f32_e32 v45, 0xbe8c1d8e, v38
	v_add_f32_e32 v27, v27, v50
	v_fma_f32 v50, v39, s4, -v41
	v_mul_f32_e32 v51, 0x3eb8f4ab, v49
	v_fmac_f32_e32 v41, 0x3f6eb680, v39
	v_add_f32_e32 v45, v45, v54
	v_mov_b32_e32 v54, v51
	v_add_f32_e32 v7, v41, v7
	v_fma_f32 v41, v38, s4, -v51
	v_mul_f32_e32 v51, 0xbf65296c, v52
	v_add_f32_e32 v50, v50, v55
	v_add_f32_e32 v41, v41, v53
	v_fma_f32 v53, v39, s7, -v51
	v_mul_f32_e32 v55, 0xbf65296c, v49
	v_fmac_f32_e32 v51, 0x3ee437d1, v39
	v_add_f32_e32 v53, v53, v62
	v_mov_b32_e32 v62, v55
	v_add_f32_e32 v51, v51, v60
	v_fma_f32 v55, v38, s7, -v55
	v_mul_f32_e32 v60, 0xbf06c442, v52
	v_add_f32_e32 v55, v55, v61
	v_fma_f32 v61, v39, s14, -v60
	v_fmac_f32_e32 v54, 0x3f6eb680, v38
	v_add_f32_e32 v61, v61, v64
	v_mul_f32_e32 v64, 0xbf06c442, v49
	v_fmac_f32_e32 v60, 0xbf59a7d5, v39
	v_add_f32_e32 v54, v54, v68
	v_mov_b32_e32 v68, v64
	v_add_f32_e32 v60, v60, v63
	v_fma_f32 v63, v38, s14, -v64
	v_mul_f32_e32 v64, 0x3f4c4adb, v52
	v_add_f32_e32 v63, v63, v69
	v_fma_f32 v69, v39, s11, -v64
	v_fmac_f32_e32 v62, 0x3ee437d1, v38
	v_add_f32_e32 v66, v69, v66
	v_mul_f32_e32 v69, 0x3f4c4adb, v49
	v_fmac_f32_e32 v64, 0xbf1a4643, v39
	v_mul_f32_e32 v52, 0x3f2c7751, v52
	v_add_f32_e32 v62, v62, v70
	v_mov_b32_e32 v70, v69
	v_add_f32_e32 v64, v64, v65
	v_fma_f32 v65, v38, s11, -v69
	v_fma_f32 v69, v39, s10, -v52
	v_mul_f32_e32 v49, 0x3f2c7751, v49
	v_add_f32_e32 v67, v69, v67
	v_mov_b32_e32 v69, v49
	v_fmac_f32_e32 v68, 0xbf59a7d5, v38
	v_fmac_f32_e32 v70, 0xbf1a4643, v38
	;; [unrolled: 1-line block ×3, first 2 shown]
	v_fma_f32 v38, v38, s10, -v49
	v_add_f32_e32 v19, v38, v19
	v_mul_f32_e32 v38, 0xbf763a35, v15
	v_fmac_f32_e32 v52, 0x3f3d2fb0, v39
	v_fma_f32 v39, v44, s6, -v38
	v_add_f32_e32 v2, v39, v2
	v_mul_f32_e32 v39, 0xbf763a35, v14
	v_fmac_f32_e32 v38, 0xbe8c1d8e, v44
	v_add_f32_e32 v23, v38, v23
	v_fma_f32 v38, v43, s6, -v39
	v_add_f32_e32 v25, v38, v25
	v_mul_f32_e32 v38, 0x3f06c442, v15
	v_mov_b32_e32 v49, v39
	v_fma_f32 v39, v44, s14, -v38
	v_add_f32_e32 v4, v39, v4
	v_mul_f32_e32 v39, 0x3f06c442, v14
	v_fmac_f32_e32 v38, 0xbf59a7d5, v44
	v_add_f32_e32 v3, v38, v3
	v_fma_f32 v38, v43, s14, -v39
	v_fmac_f32_e32 v49, 0xbe8c1d8e, v43
	v_add_f32_e32 v26, v38, v26
	v_mul_f32_e32 v38, 0x3f2c7751, v15
	v_add_f32_e32 v36, v49, v36
	v_mov_b32_e32 v49, v39
	v_fma_f32 v39, v44, s10, -v38
	v_fmac_f32_e32 v49, 0xbf59a7d5, v43
	v_add_f32_e32 v6, v39, v6
	v_mul_f32_e32 v39, 0x3f2c7751, v14
	v_fmac_f32_e32 v38, 0x3f3d2fb0, v44
	v_add_f32_e32 v42, v49, v42
	v_mov_b32_e32 v49, v39
	v_add_f32_e32 v5, v38, v5
	v_fma_f32 v38, v43, s10, -v39
	v_fmac_f32_e32 v49, 0x3f3d2fb0, v43
	v_add_f32_e32 v27, v38, v27
	v_mul_f32_e32 v38, 0xbf65296c, v15
	v_add_f32_e32 v45, v49, v45
	v_fma_f32 v39, v44, s7, -v38
	v_mul_f32_e32 v49, 0xbf65296c, v14
	v_fmac_f32_e32 v38, 0x3ee437d1, v44
	v_add_f32_e32 v7, v38, v7
	v_fma_f32 v38, v43, s7, -v49
	v_add_f32_e32 v38, v38, v41
	v_mul_f32_e32 v41, 0xbe3c28d5, v15
	v_add_f32_e32 v18, v52, v18
	v_add_f32_e32 v39, v39, v50
	v_mov_b32_e32 v50, v49
	v_fma_f32 v49, v44, s15, -v41
	v_mul_f32_e32 v52, 0xbe3c28d5, v14
	v_fmac_f32_e32 v41, 0xbf7ba420, v44
	v_fmac_f32_e32 v50, 0x3ee437d1, v43
	v_add_f32_e32 v49, v49, v53
	v_mov_b32_e32 v53, v52
	v_add_f32_e32 v41, v41, v51
	v_fma_f32 v51, v43, s15, -v52
	v_mul_f32_e32 v52, 0x3f7ee86f, v15
	v_add_f32_e32 v50, v50, v54
	v_add_f32_e32 v51, v51, v55
	v_fma_f32 v54, v44, s5, -v52
	v_mul_f32_e32 v55, 0x3f7ee86f, v14
	v_fmac_f32_e32 v52, 0x3dbcf732, v44
	v_add_f32_e32 v75, v75, v79
	v_fmac_f32_e32 v53, 0xbf7ba420, v43
	v_add_f32_e32 v54, v54, v61
	v_mov_b32_e32 v61, v55
	v_add_f32_e32 v52, v52, v60
	v_fma_f32 v55, v43, s5, -v55
	v_mul_f32_e32 v60, 0xbeb8f4ab, v15
	v_add_f32_e32 v71, v71, v75
	v_add_f32_e32 v53, v53, v62
	;; [unrolled: 1-line block ×3, first 2 shown]
	v_fma_f32 v62, v44, s4, -v60
	v_mul_f32_e32 v63, 0xbeb8f4ab, v14
	v_fmac_f32_e32 v60, 0x3f6eb680, v44
	v_mul_f32_e32 v15, 0xbf4c4adb, v15
	v_add_f32_e32 v65, v65, v71
	v_add_f32_e32 v62, v62, v66
	v_mov_b32_e32 v66, v63
	v_add_f32_e32 v60, v60, v64
	v_fma_f32 v63, v43, s4, -v63
	v_fma_f32 v64, v44, s11, -v15
	v_mul_f32_e32 v14, 0xbf4c4adb, v14
	v_fmac_f32_e32 v15, 0xbf1a4643, v44
	v_add_f32_e32 v63, v63, v65
	v_mov_b32_e32 v65, v14
	v_add_f32_e32 v15, v15, v18
	v_fma_f32 v14, v43, s11, -v14
	v_mul_f32_e32 v18, 0xbf4c4adb, v11
	v_add_f32_e32 v14, v14, v19
	v_fma_f32 v19, v9, s11, -v18
	v_add_f32_e32 v2, v19, v2
	v_mul_f32_e32 v19, 0xbf4c4adb, v10
	v_fmac_f32_e32 v18, 0xbf1a4643, v9
	v_fmac_f32_e32 v61, 0x3dbcf732, v43
	;; [unrolled: 1-line block ×4, first 2 shown]
	v_mov_b32_e32 v43, v19
	v_add_f32_e32 v18, v18, v23
	v_fma_f32 v19, v8, s11, -v19
	v_mul_f32_e32 v23, 0x3f763a35, v11
	v_add_f32_e32 v19, v19, v25
	v_fma_f32 v25, v9, s6, -v23
	v_fmac_f32_e32 v43, 0xbf1a4643, v8
	v_add_f32_e32 v4, v25, v4
	v_mul_f32_e32 v25, 0x3f763a35, v10
	v_fmac_f32_e32 v23, 0xbe8c1d8e, v9
	v_add_f32_e32 v36, v43, v36
	v_mov_b32_e32 v43, v25
	v_add_f32_e32 v3, v23, v3
	v_fma_f32 v23, v8, s6, -v25
	v_mul_f32_e32 v25, 0xbeb8f4ab, v11
	v_add_f32_e32 v23, v23, v26
	v_fma_f32 v26, v9, s4, -v25
	v_fmac_f32_e32 v43, 0xbe8c1d8e, v8
	v_add_f32_e32 v6, v26, v6
	v_mul_f32_e32 v26, 0xbeb8f4ab, v10
	v_fmac_f32_e32 v25, 0x3f6eb680, v9
	v_add_f32_e32 v42, v43, v42
	v_mov_b32_e32 v43, v26
	v_add_f32_e32 v5, v25, v5
	v_fma_f32 v25, v8, s4, -v26
	v_mul_f32_e32 v26, 0xbf06c442, v11
	v_add_f32_e32 v25, v25, v27
	v_fma_f32 v27, v9, s14, -v26
	v_add_f32_e32 v27, v27, v39
	v_mul_f32_e32 v39, 0xbf06c442, v10
	v_fmac_f32_e32 v26, 0xbf59a7d5, v9
	v_add_f32_e32 v7, v26, v7
	v_fma_f32 v26, v8, s14, -v39
	v_fmac_f32_e32 v43, 0x3f6eb680, v8
	v_add_f32_e32 v26, v26, v38
	v_mul_f32_e32 v38, 0x3f7ee86f, v11
	v_add_f32_e32 v43, v43, v45
	v_mov_b32_e32 v44, v39
	v_fma_f32 v39, v9, s5, -v38
	v_mul_f32_e32 v45, 0x3f7ee86f, v10
	v_fmac_f32_e32 v38, 0x3dbcf732, v9
	v_fmac_f32_e32 v44, 0xbf59a7d5, v8
	v_add_f32_e32 v39, v39, v49
	v_mov_b32_e32 v49, v45
	v_add_f32_e32 v38, v38, v41
	v_fma_f32 v41, v8, s5, -v45
	v_mul_f32_e32 v45, 0xbf2c7751, v11
	v_add_f32_e32 v72, v72, v76
	v_add_f32_e32 v44, v44, v50
	v_fmac_f32_e32 v49, 0x3dbcf732, v8
	v_add_f32_e32 v41, v41, v51
	v_fma_f32 v50, v9, s10, -v45
	v_mul_f32_e32 v51, 0xbf2c7751, v10
	v_fmac_f32_e32 v45, 0x3f3d2fb0, v9
	v_add_f32_e32 v68, v68, v72
	v_add_f32_e32 v49, v49, v53
	v_mov_b32_e32 v53, v51
	v_add_f32_e32 v45, v45, v52
	v_fma_f32 v51, v8, s10, -v51
	v_mul_f32_e32 v52, 0xbe3c28d5, v11
	v_add_f32_e32 v61, v61, v68
	v_add_f32_e32 v50, v50, v54
	v_fmac_f32_e32 v53, 0x3f3d2fb0, v8
	v_add_f32_e32 v51, v51, v55
	v_fma_f32 v54, v9, s15, -v52
	v_mul_f32_e32 v55, 0xbe3c28d5, v10
	v_mul_f32_e32 v10, 0x3f65296c, v10
	v_add_f32_e32 v53, v53, v61
	v_add_f32_e32 v54, v54, v62
	v_mov_b32_e32 v61, v55
	v_fmac_f32_e32 v52, 0xbf7ba420, v9
	v_mul_f32_e32 v11, 0x3f65296c, v11
	v_mov_b32_e32 v62, v10
	v_fmac_f32_e32 v61, 0xbf7ba420, v8
	v_add_f32_e32 v52, v52, v60
	v_fma_f32 v55, v8, s15, -v55
	v_fma_f32 v60, v9, s7, -v11
	v_fmac_f32_e32 v62, 0x3ee437d1, v8
	v_fmac_f32_e32 v11, 0x3ee437d1, v9
	v_fma_f32 v8, v8, s7, -v10
	v_mul_f32_e32 v10, 0xbf06c442, v1
	v_add_f32_e32 v9, v11, v15
	v_fma_f32 v11, v13, s14, -v10
	v_fmac_f32_e32 v10, 0xbf59a7d5, v13
	v_mul_f32_e32 v15, 0x3f65296c, v1
	v_add_f32_e32 v2, v11, v2
	v_mul_f32_e32 v11, 0xbf06c442, v0
	v_add_f32_e32 v10, v10, v18
	v_fma_f32 v18, v13, s7, -v15
	v_add_f32_e32 v8, v8, v14
	v_mov_b32_e32 v14, v11
	v_fma_f32 v11, v12, s14, -v11
	v_add_f32_e32 v4, v18, v4
	v_mul_f32_e32 v18, 0x3f65296c, v0
	v_fmac_f32_e32 v15, 0x3ee437d1, v13
	v_add_f32_e32 v11, v11, v19
	v_mov_b32_e32 v19, v18
	v_add_f32_e32 v3, v15, v3
	v_fma_f32 v15, v12, s7, -v18
	v_mul_f32_e32 v18, 0xbf7ee86f, v1
	v_add_f32_e32 v15, v15, v23
	v_fma_f32 v23, v13, s5, -v18
	v_fmac_f32_e32 v14, 0xbf59a7d5, v12
	v_add_f32_e32 v6, v23, v6
	v_mul_f32_e32 v23, 0xbf7ee86f, v0
	v_fmac_f32_e32 v18, 0x3dbcf732, v13
	v_add_f32_e32 v14, v14, v36
	v_mov_b32_e32 v36, v23
	v_add_f32_e32 v5, v18, v5
	v_fma_f32 v18, v12, s5, -v23
	v_mul_f32_e32 v23, 0x3f4c4adb, v1
	v_add_f32_e32 v18, v18, v25
	v_fma_f32 v25, v13, s11, -v23
	v_add_f32_e32 v77, v77, v80
	v_fmac_f32_e32 v19, 0x3ee437d1, v12
	v_add_f32_e32 v27, v25, v27
	v_mul_f32_e32 v25, 0x3f4c4adb, v0
	v_fmac_f32_e32 v23, 0xbf1a4643, v13
	v_add_f32_e32 v78, v81, v78
	v_add_f32_e32 v73, v73, v77
	;; [unrolled: 1-line block ×3, first 2 shown]
	v_mov_b32_e32 v42, v25
	v_add_f32_e32 v7, v23, v7
	v_fma_f32 v23, v12, s11, -v25
	v_mul_f32_e32 v25, 0xbeb8f4ab, v1
	v_add_f32_e32 v74, v74, v78
	v_add_f32_e32 v69, v69, v73
	;; [unrolled: 1-line block ×3, first 2 shown]
	v_fma_f32 v26, v13, s4, -v25
	v_add_f32_e32 v70, v70, v74
	v_add_f32_e32 v65, v65, v69
	;; [unrolled: 1-line block ×4, first 2 shown]
	v_mul_f32_e32 v26, 0xbeb8f4ab, v0
	v_fmac_f32_e32 v25, 0x3f6eb680, v13
	v_add_f32_e32 v66, v66, v70
	v_add_f32_e32 v62, v62, v65
	;; [unrolled: 1-line block ×3, first 2 shown]
	v_fma_f32 v25, v12, s4, -v26
	v_add_f32_e32 v61, v61, v66
	v_add_f32_e32 v66, v25, v41
	v_mul_f32_e32 v25, 0xbe3c28d5, v1
	v_mov_b32_e32 v39, v26
	v_fma_f32 v26, v13, s15, -v25
	v_add_f32_e32 v64, v64, v67
	v_add_f32_e32 v67, v26, v50
	v_mul_f32_e32 v26, 0xbe3c28d5, v0
	v_fmac_f32_e32 v25, 0xbf7ba420, v13
	v_add_f32_e32 v45, v25, v45
	v_fma_f32 v25, v12, s15, -v26
	v_add_f32_e32 v68, v25, v51
	v_mul_f32_e32 v25, 0x3f2c7751, v1
	v_mov_b32_e32 v38, v26
	v_fma_f32 v26, v13, s10, -v25
	v_add_f32_e32 v54, v26, v54
	v_mul_f32_e32 v26, 0x3f2c7751, v0
	v_fmac_f32_e32 v25, 0x3f3d2fb0, v13
	v_add_f32_e32 v69, v25, v52
	v_fma_f32 v25, v12, s10, -v26
	v_mul_f32_e32 v1, 0xbf763a35, v1
	v_add_f32_e32 v60, v60, v64
	v_add_f32_e32 v55, v25, v55
	v_fma_f32 v25, v13, s6, -v1
	v_mul_f32_e32 v0, 0xbf763a35, v0
	v_add_f32_e32 v60, v25, v60
	v_mov_b32_e32 v25, v0
	v_fma_f32 v0, v12, s6, -v0
	v_fmac_f32_e32 v1, 0xbe8c1d8e, v13
	v_add_f32_e32 v71, v0, v8
	v_mul_f32_e32 v0, 0xbe3c28d5, v59
	v_fmac_f32_e32 v25, 0xbe8c1d8e, v12
	v_add_f32_e32 v70, v1, v9
	v_fma_f32 v1, v57, s15, -v0
	v_add_f32_e32 v62, v25, v62
	v_add_f32_e32 v25, v1, v2
	v_mul_f32_e32 v1, 0xbe3c28d5, v58
	v_mov_b32_e32 v2, v1
	v_fmac_f32_e32 v38, 0xbf7ba420, v12
	v_fmac_f32_e32 v2, 0xbf7ba420, v56
	v_add_f32_e32 v53, v38, v53
	v_mov_b32_e32 v38, v26
	v_add_f32_e32 v26, v2, v14
	v_mul_f32_e32 v2, 0x3eb8f4ab, v59
	v_fmac_f32_e32 v38, 0x3f3d2fb0, v12
	v_fma_f32 v8, v57, s4, -v2
	v_add_f32_e32 v61, v38, v61
	v_add_f32_e32 v38, v8, v4
	v_mul_f32_e32 v4, 0x3eb8f4ab, v58
	v_mov_b32_e32 v8, v4
	v_fmac_f32_e32 v2, 0x3f6eb680, v57
	v_fmac_f32_e32 v39, 0x3f6eb680, v12
	;; [unrolled: 1-line block ×3, first 2 shown]
	v_add_f32_e32 v2, v2, v3
	v_fma_f32 v3, v56, s4, -v4
	v_mul_f32_e32 v4, 0xbf06c442, v59
	v_add_f32_e32 v64, v39, v49
	v_add_f32_e32 v39, v8, v19
	v_fma_f32 v8, v57, s14, -v4
	v_add_f32_e32 v41, v8, v6
	v_mul_f32_e32 v6, 0xbf06c442, v58
	v_fmac_f32_e32 v36, 0x3dbcf732, v12
	v_mov_b32_e32 v8, v6
	v_fmac_f32_e32 v4, 0xbf59a7d5, v57
	v_add_f32_e32 v36, v36, v43
	v_fmac_f32_e32 v42, 0xbf1a4643, v12
	v_fmac_f32_e32 v8, 0xbf59a7d5, v56
	v_add_f32_e32 v4, v4, v5
	v_fma_f32 v5, v56, s14, -v6
	v_mul_f32_e32 v6, 0x3f2c7751, v59
	v_add_f32_e32 v44, v42, v44
	v_add_f32_e32 v42, v8, v36
	v_fma_f32 v8, v57, s10, -v6
	v_add_f32_e32 v43, v8, v27
	v_mul_f32_e32 v8, 0x3f2c7751, v58
	v_mov_b32_e32 v9, v8
	v_fmac_f32_e32 v6, 0x3f3d2fb0, v57
	v_fmac_f32_e32 v9, 0x3f3d2fb0, v56
	v_add_f32_e32 v6, v6, v7
	v_fma_f32 v7, v56, s10, -v8
	v_mul_f32_e32 v8, 0xbf4c4adb, v59
	v_add_f32_e32 v44, v9, v44
	v_fma_f32 v9, v57, s11, -v8
	v_fmac_f32_e32 v0, 0xbf7ba420, v57
	v_add_f32_e32 v49, v9, v63
	v_mul_f32_e32 v9, 0xbf4c4adb, v58
	v_add_f32_e32 v0, v0, v10
	v_mov_b32_e32 v10, v9
	v_fmac_f32_e32 v10, 0xbf1a4643, v56
	v_fma_f32 v1, v56, s15, -v1
	v_add_f32_e32 v50, v10, v64
	v_mul_f32_e32 v10, 0x3f65296c, v59
	v_add_f32_e32 v1, v1, v11
	v_fma_f32 v11, v57, s7, -v10
	v_add_f32_e32 v51, v11, v67
	v_mul_f32_e32 v11, 0x3f65296c, v58
	v_mov_b32_e32 v12, v11
	v_fmac_f32_e32 v12, 0x3ee437d1, v56
	v_add_f32_e32 v52, v12, v53
	v_mul_f32_e32 v12, 0xbf763a35, v59
	v_fma_f32 v13, v57, s6, -v12
	v_add_f32_e32 v53, v13, v54
	v_mul_f32_e32 v13, 0xbf763a35, v58
	v_mov_b32_e32 v14, v13
	v_add_f32_e32 v5, v5, v18
	v_fmac_f32_e32 v14, 0xbe8c1d8e, v56
	v_mul_f32_e32 v18, 0x3f7ee86f, v59
	v_mul_f32_e32 v19, 0x3f7ee86f, v58
	v_add_f32_e32 v3, v3, v15
	v_add_f32_e32 v7, v7, v23
	;; [unrolled: 1-line block ×3, first 2 shown]
	v_fma_f32 v14, v57, s5, -v18
	v_mov_b32_e32 v15, v19
	v_fmac_f32_e32 v18, 0x3dbcf732, v57
	v_mul_u32_u24_e32 v23, 0x88, v28
	v_fmac_f32_e32 v8, 0xbf1a4643, v57
	v_fma_f32 v9, v56, s11, -v9
	v_fmac_f32_e32 v10, 0x3ee437d1, v57
	v_fma_f32 v11, v56, s7, -v11
	;; [unrolled: 2-line block ×3, first 2 shown]
	v_fmac_f32_e32 v15, 0x3dbcf732, v56
	v_add_f32_e32 v18, v18, v70
	v_fma_f32 v19, v56, s5, -v19
	v_add3_u32 v23, 0, v23, v21
	v_subrev_u32_e32 v36, 17, v28
	v_add_f32_e32 v8, v8, v65
	v_add_f32_e32 v9, v9, v66
	;; [unrolled: 1-line block ×9, first 2 shown]
	s_barrier
	ds_write2_b64 v23, v[16:17], v[25:26] offset1:1
	ds_write2_b64 v23, v[38:39], v[41:42] offset0:2 offset1:3
	ds_write2_b64 v23, v[43:44], v[49:50] offset0:4 offset1:5
	;; [unrolled: 1-line block ×7, first 2 shown]
	ds_write_b64 v23, v[0:1] offset:128
	v_cndmask_b32_e32 v18, v36, v28, vcc
	v_lshlrev_b32_e32 v0, 4, v18
	v_mov_b32_e32 v1, v29
	v_lshlrev_b64 v[0:1], 3, v[0:1]
	v_mov_b32_e32 v2, s9
	v_add_co_u32_e64 v8, s[2:3], s8, v0
	v_addc_co_u32_e64 v9, s[2:3], v2, v1, s[2:3]
	s_waitcnt lgkmcnt(0)
	s_barrier
	global_load_dwordx4 v[0:3], v[8:9], off
	global_load_dwordx4 v[4:7], v[8:9], off offset:16
	global_load_dwordx4 v[10:13], v[8:9], off offset:32
	;; [unrolled: 1-line block ×7, first 2 shown]
	ds_read2_b64 v[14:17], v47 offset0:34 offset1:68
	ds_read2_b64 v[65:68], v47 offset0:102 offset1:136
	;; [unrolled: 1-line block ×3, first 2 shown]
	ds_read_b64 v[38:39], v40
	v_cmp_lt_u32_e64 s[2:3], 16, v28
	v_lshlrev_b32_e32 v18, 3, v18
	s_waitcnt vmcnt(7) lgkmcnt(3)
	v_mul_f32_e32 v8, v1, v15
	v_mul_f32_e32 v73, v1, v14
	v_fma_f32 v45, v0, v14, -v8
	v_fmac_f32_e32 v73, v0, v15
	v_mul_f32_e32 v0, v3, v17
	v_fma_f32 v74, v2, v16, -v0
	v_mul_f32_e32 v75, v3, v16
	s_waitcnt vmcnt(6) lgkmcnt(2)
	v_mul_f32_e32 v0, v66, v5
	v_fmac_f32_e32 v75, v2, v17
	v_fma_f32 v29, v65, v4, -v0
	v_mul_f32_e32 v27, v65, v5
	ds_read2_b64 v[0:3], v47 offset0:170 offset1:204
	v_fmac_f32_e32 v27, v66, v4
	v_mul_f32_e32 v4, v68, v7
	v_mul_f32_e32 v19, v67, v7
	v_fma_f32 v23, v67, v6, -v4
	v_fmac_f32_e32 v19, v68, v6
	ds_read2_b64 v[65:68], v20 offset0:110 offset1:144
	s_waitcnt vmcnt(5) lgkmcnt(1)
	v_mul_f32_e32 v4, v1, v11
	v_fma_f32 v15, v0, v10, -v4
	v_mul_f32_e32 v14, v0, v11
	v_mul_f32_e32 v0, v3, v13
	v_fma_f32 v11, v2, v12, -v0
	s_waitcnt vmcnt(4) lgkmcnt(0)
	v_mul_f32_e32 v0, v66, v42
	v_fmac_f32_e32 v14, v1, v10
	v_mul_f32_e32 v10, v2, v13
	v_fma_f32 v7, v65, v41, -v0
	v_mul_f32_e32 v6, v65, v42
	v_mul_f32_e32 v0, v68, v44
	;; [unrolled: 1-line block ×3, first 2 shown]
	v_fmac_f32_e32 v10, v3, v12
	v_fmac_f32_e32 v6, v66, v41
	v_fma_f32 v3, v67, v43, -v0
	v_fmac_f32_e32 v2, v68, v43
	ds_read2_b64 v[41:44], v24 offset0:118 offset1:152
	s_waitcnt vmcnt(3)
	v_mul_f32_e32 v0, v70, v50
	v_fma_f32 v5, v69, v49, -v0
	v_mul_f32_e32 v4, v69, v50
	v_mul_f32_e32 v0, v72, v52
	;; [unrolled: 1-line block ×3, first 2 shown]
	v_fmac_f32_e32 v4, v70, v49
	v_fma_f32 v9, v71, v51, -v0
	v_fmac_f32_e32 v8, v72, v51
	s_waitcnt vmcnt(2) lgkmcnt(0)
	v_mul_f32_e32 v0, v42, v54
	ds_read2_b64 v[49:52], v24 offset0:186 offset1:220
	v_fma_f32 v13, v41, v53, -v0
	v_mul_f32_e32 v12, v41, v54
	v_mul_f32_e32 v0, v44, v56
	;; [unrolled: 1-line block ×3, first 2 shown]
	v_fmac_f32_e32 v12, v42, v53
	v_fma_f32 v17, v43, v55, -v0
	v_fmac_f32_e32 v16, v44, v55
	ds_read2_b64 v[41:44], v22 offset0:126 offset1:160
	s_waitcnt vmcnt(1) lgkmcnt(1)
	v_mul_f32_e32 v0, v50, v58
	v_fma_f32 v26, v49, v57, -v0
	v_mul_f32_e32 v0, v52, v60
	v_mul_f32_e32 v25, v49, v58
	v_fma_f32 v22, v51, v59, -v0
	s_waitcnt vmcnt(0) lgkmcnt(0)
	v_mul_f32_e32 v0, v42, v62
	v_fmac_f32_e32 v25, v50, v57
	v_fma_f32 v50, v41, v61, -v0
	v_mul_f32_e32 v41, v41, v62
	v_mul_f32_e32 v0, v44, v64
	v_add_f32_e32 v1, v73, v39
	v_fmac_f32_e32 v41, v42, v61
	v_fma_f32 v42, v43, v63, -v0
	v_add_f32_e32 v0, v45, v38
	v_add_f32_e32 v1, v1, v75
	;; [unrolled: 1-line block ×20, first 2 shown]
	v_mul_f32_e32 v49, v51, v60
	v_add_f32_e32 v0, v0, v13
	v_add_f32_e32 v1, v1, v16
	v_fmac_f32_e32 v49, v52, v59
	v_add_f32_e32 v0, v0, v17
	v_add_f32_e32 v1, v1, v25
	v_mul_f32_e32 v43, v43, v64
	v_add_f32_e32 v0, v0, v26
	v_add_f32_e32 v1, v1, v49
	v_fmac_f32_e32 v43, v44, v63
	v_add_f32_e32 v0, v0, v22
	v_add_f32_e32 v1, v1, v41
	;; [unrolled: 1-line block ×5, first 2 shown]
	v_sub_f32_e32 v43, v73, v43
	v_add_f32_e32 v0, v0, v42
	v_add_f32_e32 v44, v45, v42
	v_sub_f32_e32 v42, v45, v42
	v_mul_f32_e32 v45, 0xbeb8f4ab, v43
	v_mul_f32_e32 v53, 0xbf2c7751, v43
	;; [unrolled: 1-line block ×8, first 2 shown]
	v_fma_f32 v52, v44, s4, -v45
	v_fmac_f32_e32 v45, 0x3f6eb680, v44
	v_fma_f32 v54, v44, s10, -v53
	v_fmac_f32_e32 v53, 0x3f3d2fb0, v44
	;; [unrolled: 2-line block ×8, first 2 shown]
	v_mul_f32_e32 v44, 0xbeb8f4ab, v42
	v_mul_f32_e32 v67, 0xbf2c7751, v42
	;; [unrolled: 1-line block ×8, first 2 shown]
	v_mov_b32_e32 v66, v44
	v_mov_b32_e32 v68, v67
	;; [unrolled: 1-line block ×8, first 2 shown]
	v_fmac_f32_e32 v66, 0x3f6eb680, v51
	v_fma_f32 v44, v51, s4, -v44
	v_fmac_f32_e32 v68, 0x3f3d2fb0, v51
	v_fma_f32 v67, v51, s10, -v67
	;; [unrolled: 2-line block ×8, first 2 shown]
	v_add_f32_e32 v51, v52, v38
	v_add_f32_e32 v52, v66, v39
	;; [unrolled: 1-line block ×33, first 2 shown]
	v_sub_f32_e32 v43, v74, v50
	v_add_f32_e32 v50, v75, v41
	v_sub_f32_e32 v41, v75, v41
	v_mul_f32_e32 v74, 0xbf2c7751, v41
	v_fma_f32 v75, v42, s10, -v74
	v_add_f32_e32 v51, v75, v51
	v_mul_f32_e32 v75, 0xbf2c7751, v43
	v_fmac_f32_e32 v74, 0x3f3d2fb0, v42
	v_add_f32_e32 v45, v74, v45
	v_fma_f32 v74, v50, s10, -v75
	v_add_f32_e32 v44, v74, v44
	v_mul_f32_e32 v74, 0xbf7ee86f, v41
	v_mov_b32_e32 v81, v75
	v_fma_f32 v75, v42, s5, -v74
	v_add_f32_e32 v54, v75, v54
	v_mul_f32_e32 v75, 0xbf7ee86f, v43
	v_fmac_f32_e32 v74, 0x3dbcf732, v42
	v_add_f32_e32 v53, v74, v53
	v_fma_f32 v74, v50, s5, -v75
	v_fmac_f32_e32 v81, 0x3f3d2fb0, v50
	v_add_f32_e32 v67, v74, v67
	v_mul_f32_e32 v74, 0xbf4c4adb, v41
	v_add_f32_e32 v52, v81, v52
	v_mov_b32_e32 v81, v75
	v_fma_f32 v75, v42, s11, -v74
	v_add_f32_e32 v56, v75, v56
	v_mul_f32_e32 v75, 0xbf4c4adb, v43
	v_fmac_f32_e32 v74, 0xbf1a4643, v42
	v_add_f32_e32 v55, v74, v55
	v_fma_f32 v74, v50, s11, -v75
	v_fmac_f32_e32 v81, 0x3dbcf732, v50
	v_add_f32_e32 v69, v74, v69
	v_mul_f32_e32 v74, 0xbe3c28d5, v41
	v_add_f32_e32 v66, v81, v66
	v_mov_b32_e32 v81, v75
	v_fma_f32 v75, v42, s15, -v74
	v_add_f32_e32 v58, v75, v58
	v_mul_f32_e32 v75, 0xbe3c28d5, v43
	v_fmac_f32_e32 v74, 0xbf7ba420, v42
	v_add_f32_e32 v57, v74, v57
	v_fma_f32 v74, v50, s15, -v75
	v_fmac_f32_e32 v81, 0xbf1a4643, v50
	v_add_f32_e32 v71, v74, v71
	v_mul_f32_e32 v74, 0x3f06c442, v41
	v_add_f32_e32 v68, v81, v68
	v_mov_b32_e32 v81, v75
	v_fma_f32 v75, v42, s14, -v74
	v_add_f32_e32 v60, v75, v60
	v_mul_f32_e32 v75, 0x3f06c442, v43
	v_fmac_f32_e32 v74, 0xbf59a7d5, v42
	v_add_f32_e32 v59, v74, v59
	v_fma_f32 v74, v50, s14, -v75
	v_fmac_f32_e32 v81, 0xbf7ba420, v50
	v_add_f32_e32 v73, v74, v73
	v_mul_f32_e32 v74, 0x3f763a35, v41
	v_add_f32_e32 v70, v81, v70
	v_mov_b32_e32 v81, v75
	v_fma_f32 v75, v42, s6, -v74
	v_fmac_f32_e32 v81, 0xbf59a7d5, v50
	v_add_f32_e32 v62, v75, v62
	v_mul_f32_e32 v75, 0x3f763a35, v43
	v_fmac_f32_e32 v74, 0xbe8c1d8e, v42
	v_add_f32_e32 v72, v81, v72
	v_mov_b32_e32 v81, v75
	v_add_f32_e32 v61, v74, v61
	v_fma_f32 v74, v50, s6, -v75
	v_mul_f32_e32 v75, 0x3f65296c, v41
	v_add_f32_e32 v74, v74, v77
	v_fma_f32 v77, v42, s7, -v75
	v_fmac_f32_e32 v81, 0xbe8c1d8e, v50
	v_add_f32_e32 v64, v77, v64
	v_mul_f32_e32 v77, 0x3f65296c, v43
	v_fmac_f32_e32 v75, 0x3ee437d1, v42
	v_mul_f32_e32 v41, 0x3eb8f4ab, v41
	v_add_f32_e32 v76, v81, v76
	v_mov_b32_e32 v81, v77
	v_add_f32_e32 v63, v75, v63
	v_fma_f32 v75, v50, s7, -v77
	v_fma_f32 v77, v42, s4, -v41
	v_mul_f32_e32 v43, 0x3eb8f4ab, v43
	v_fmac_f32_e32 v41, 0x3f6eb680, v42
	v_add_f32_e32 v38, v41, v38
	v_fma_f32 v41, v50, s4, -v43
	v_add_f32_e32 v39, v41, v39
	v_add_f32_e32 v41, v29, v22
	v_sub_f32_e32 v22, v29, v22
	v_add_f32_e32 v29, v27, v49
	v_sub_f32_e32 v27, v27, v49
	v_mul_f32_e32 v42, 0xbf65296c, v27
	v_add_f32_e32 v65, v77, v65
	v_mov_b32_e32 v77, v43
	v_fma_f32 v43, v41, s7, -v42
	v_mul_f32_e32 v49, 0xbf65296c, v22
	v_fmac_f32_e32 v42, 0x3ee437d1, v41
	v_add_f32_e32 v42, v42, v45
	v_fma_f32 v45, v29, s7, -v49
	v_add_f32_e32 v44, v45, v44
	v_mul_f32_e32 v45, 0xbf4c4adb, v27
	v_fmac_f32_e32 v81, 0x3ee437d1, v50
	v_fmac_f32_e32 v77, 0x3f6eb680, v50
	v_mov_b32_e32 v50, v49
	v_fma_f32 v49, v41, s11, -v45
	v_fmac_f32_e32 v45, 0xbf1a4643, v41
	v_add_f32_e32 v43, v43, v51
	v_fmac_f32_e32 v50, 0x3ee437d1, v29
	v_mul_f32_e32 v51, 0xbf4c4adb, v22
	v_add_f32_e32 v45, v45, v53
	v_mul_f32_e32 v53, 0x3e3c28d5, v27
	v_add_f32_e32 v50, v50, v52
	v_add_f32_e32 v49, v49, v54
	v_mov_b32_e32 v52, v51
	v_fma_f32 v54, v41, s15, -v53
	v_fmac_f32_e32 v52, 0xbf1a4643, v29
	v_add_f32_e32 v54, v54, v56
	v_mul_f32_e32 v56, 0x3e3c28d5, v22
	v_fmac_f32_e32 v53, 0xbf7ba420, v41
	v_add_f32_e32 v52, v52, v66
	v_fma_f32 v51, v29, s11, -v51
	v_mov_b32_e32 v66, v56
	v_add_f32_e32 v53, v53, v55
	v_fma_f32 v55, v29, s15, -v56
	v_mul_f32_e32 v56, 0x3f763a35, v27
	v_add_f32_e32 v51, v51, v67
	v_fma_f32 v67, v41, s6, -v56
	v_fmac_f32_e32 v66, 0xbf7ba420, v29
	v_add_f32_e32 v58, v67, v58
	v_mul_f32_e32 v67, 0x3f763a35, v22
	v_fmac_f32_e32 v56, 0xbe8c1d8e, v41
	v_add_f32_e32 v66, v66, v68
	v_mov_b32_e32 v68, v67
	v_add_f32_e32 v56, v56, v57
	v_fma_f32 v57, v29, s6, -v67
	v_mul_f32_e32 v67, 0x3f2c7751, v27
	v_add_f32_e32 v55, v55, v69
	v_fma_f32 v69, v41, s10, -v67
	v_fmac_f32_e32 v68, 0xbe8c1d8e, v29
	v_add_f32_e32 v60, v69, v60
	v_mul_f32_e32 v69, 0x3f2c7751, v22
	v_fmac_f32_e32 v67, 0x3f3d2fb0, v41
	v_add_f32_e32 v68, v68, v70
	v_mov_b32_e32 v70, v69
	v_add_f32_e32 v59, v67, v59
	v_fma_f32 v67, v29, s10, -v69
	v_mul_f32_e32 v69, 0xbeb8f4ab, v27
	v_add_f32_e32 v57, v57, v71
	v_fma_f32 v71, v41, s4, -v69
	v_fmac_f32_e32 v70, 0x3f3d2fb0, v29
	v_add_f32_e32 v62, v71, v62
	v_mul_f32_e32 v71, 0xbeb8f4ab, v22
	v_fmac_f32_e32 v69, 0x3f6eb680, v41
	v_add_f32_e32 v70, v70, v72
	v_mov_b32_e32 v72, v71
	v_add_f32_e32 v61, v69, v61
	v_fma_f32 v69, v29, s4, -v71
	v_mul_f32_e32 v71, 0xbf7ee86f, v27
	v_add_f32_e32 v67, v67, v73
	v_fma_f32 v73, v41, s5, -v71
	v_add_f32_e32 v64, v73, v64
	v_mul_f32_e32 v73, 0xbf7ee86f, v22
	v_fmac_f32_e32 v71, 0x3dbcf732, v41
	v_mul_f32_e32 v27, 0xbf06c442, v27
	v_add_f32_e32 v69, v69, v74
	v_mov_b32_e32 v74, v73
	v_add_f32_e32 v63, v71, v63
	v_fma_f32 v71, v29, s5, -v73
	v_fma_f32 v73, v41, s14, -v27
	v_mul_f32_e32 v22, 0xbf06c442, v22
	v_add_f32_e32 v65, v73, v65
	v_mov_b32_e32 v73, v22
	v_fmac_f32_e32 v72, 0x3f6eb680, v29
	v_fmac_f32_e32 v74, 0x3dbcf732, v29
	;; [unrolled: 1-line block ×3, first 2 shown]
	v_fma_f32 v22, v29, s14, -v22
	v_add_f32_e32 v29, v23, v26
	v_sub_f32_e32 v23, v23, v26
	v_add_f32_e32 v26, v19, v25
	v_sub_f32_e32 v19, v19, v25
	v_fmac_f32_e32 v27, 0xbf59a7d5, v41
	v_mul_f32_e32 v25, 0xbf7ee86f, v19
	v_add_f32_e32 v27, v27, v38
	v_add_f32_e32 v22, v22, v39
	v_fma_f32 v38, v29, s5, -v25
	v_mul_f32_e32 v39, 0xbf7ee86f, v23
	v_fmac_f32_e32 v25, 0x3dbcf732, v29
	v_mov_b32_e32 v41, v39
	v_add_f32_e32 v25, v25, v42
	v_fma_f32 v39, v26, s5, -v39
	v_mul_f32_e32 v42, 0xbe3c28d5, v19
	v_add_f32_e32 v38, v38, v43
	v_add_f32_e32 v39, v39, v44
	v_fma_f32 v43, v29, s15, -v42
	v_mul_f32_e32 v44, 0xbe3c28d5, v23
	v_fmac_f32_e32 v42, 0xbf7ba420, v29
	v_fmac_f32_e32 v41, 0x3dbcf732, v26
	v_add_f32_e32 v43, v43, v49
	v_mov_b32_e32 v49, v44
	v_add_f32_e32 v42, v42, v45
	v_fma_f32 v44, v26, s15, -v44
	v_mul_f32_e32 v45, 0x3f763a35, v19
	v_add_f32_e32 v41, v41, v50
	v_fmac_f32_e32 v49, 0xbf7ba420, v26
	v_add_f32_e32 v44, v44, v51
	v_fma_f32 v50, v29, s6, -v45
	v_mul_f32_e32 v51, 0x3f763a35, v23
	v_fmac_f32_e32 v45, 0xbe8c1d8e, v29
	v_add_f32_e32 v49, v49, v52
	v_mov_b32_e32 v52, v51
	v_add_f32_e32 v45, v45, v53
	v_fma_f32 v51, v26, s6, -v51
	v_mul_f32_e32 v53, 0x3eb8f4ab, v19
	v_add_f32_e32 v50, v50, v54
	v_add_f32_e32 v51, v51, v55
	v_fma_f32 v54, v29, s4, -v53
	v_mul_f32_e32 v55, 0x3eb8f4ab, v23
	v_fmac_f32_e32 v53, 0x3f6eb680, v29
	v_add_f32_e32 v54, v54, v58
	v_mov_b32_e32 v58, v55
	v_add_f32_e32 v53, v53, v56
	v_fma_f32 v55, v26, s4, -v55
	v_mul_f32_e32 v56, 0xbf65296c, v19
	v_add_f32_e32 v55, v55, v57
	v_fma_f32 v57, v29, s7, -v56
	v_fmac_f32_e32 v52, 0xbe8c1d8e, v26
	v_add_f32_e32 v57, v57, v60
	v_mul_f32_e32 v60, 0xbf65296c, v23
	v_fmac_f32_e32 v56, 0x3ee437d1, v29
	v_add_f32_e32 v52, v52, v66
	v_mov_b32_e32 v66, v60
	v_add_f32_e32 v56, v56, v59
	v_fma_f32 v59, v26, s7, -v60
	v_mul_f32_e32 v60, 0xbf06c442, v19
	v_add_f32_e32 v59, v59, v67
	v_fma_f32 v67, v29, s14, -v60
	v_fmac_f32_e32 v58, 0x3f6eb680, v26
	v_add_f32_e32 v62, v67, v62
	;; [unrolled: 11-line block ×3, first 2 shown]
	v_mul_f32_e32 v69, 0x3f4c4adb, v23
	v_fmac_f32_e32 v67, 0xbf1a4643, v29
	v_mul_f32_e32 v19, 0x3f2c7751, v19
	v_add_f32_e32 v66, v66, v70
	v_mov_b32_e32 v70, v69
	v_add_f32_e32 v63, v67, v63
	v_fma_f32 v67, v26, s11, -v69
	v_fma_f32 v69, v29, s10, -v19
	v_mul_f32_e32 v23, 0x3f2c7751, v23
	v_add_f32_e32 v65, v69, v65
	v_mov_b32_e32 v69, v23
	v_fma_f32 v23, v26, s10, -v23
	v_add_f32_e32 v22, v23, v22
	v_add_f32_e32 v23, v15, v17
	v_sub_f32_e32 v15, v15, v17
	v_add_f32_e32 v17, v14, v16
	v_sub_f32_e32 v14, v14, v16
	v_fmac_f32_e32 v19, 0x3f3d2fb0, v29
	v_mul_f32_e32 v16, 0xbf763a35, v14
	v_fmac_f32_e32 v68, 0xbf59a7d5, v26
	v_fmac_f32_e32 v70, 0xbf1a4643, v26
	;; [unrolled: 1-line block ×3, first 2 shown]
	v_add_f32_e32 v19, v19, v27
	v_fma_f32 v26, v23, s6, -v16
	v_mul_f32_e32 v27, 0xbf763a35, v15
	v_fmac_f32_e32 v16, 0xbe8c1d8e, v23
	v_mov_b32_e32 v29, v27
	v_add_f32_e32 v16, v16, v25
	v_fma_f32 v25, v17, s6, -v27
	v_mul_f32_e32 v27, 0x3f06c442, v14
	v_add_f32_e32 v26, v26, v38
	v_fmac_f32_e32 v29, 0xbe8c1d8e, v17
	v_add_f32_e32 v25, v25, v39
	v_fma_f32 v38, v23, s14, -v27
	v_mul_f32_e32 v39, 0x3f06c442, v15
	v_fmac_f32_e32 v27, 0xbf59a7d5, v23
	v_add_f32_e32 v29, v29, v41
	v_mov_b32_e32 v41, v39
	v_add_f32_e32 v27, v27, v42
	v_fma_f32 v39, v17, s14, -v39
	v_mul_f32_e32 v42, 0x3f2c7751, v14
	v_add_f32_e32 v38, v38, v43
	v_fmac_f32_e32 v41, 0xbf59a7d5, v17
	v_add_f32_e32 v39, v39, v44
	v_fma_f32 v43, v23, s10, -v42
	v_mul_f32_e32 v44, 0x3f2c7751, v15
	v_fmac_f32_e32 v42, 0x3f3d2fb0, v23
	v_add_f32_e32 v41, v41, v49
	;; [unrolled: 11-line block ×3, first 2 shown]
	v_mov_b32_e32 v52, v51
	v_add_f32_e32 v45, v45, v53
	v_fma_f32 v51, v17, s7, -v51
	v_mul_f32_e32 v53, 0xbe3c28d5, v14
	v_add_f32_e32 v50, v50, v54
	v_add_f32_e32 v51, v51, v55
	v_fma_f32 v54, v23, s15, -v53
	v_mul_f32_e32 v55, 0xbe3c28d5, v15
	v_fmac_f32_e32 v53, 0xbf7ba420, v23
	v_fmac_f32_e32 v52, 0x3ee437d1, v17
	v_add_f32_e32 v54, v54, v57
	v_mov_b32_e32 v57, v55
	v_add_f32_e32 v53, v53, v56
	v_fma_f32 v55, v17, s15, -v55
	v_mul_f32_e32 v56, 0x3f7ee86f, v14
	v_add_f32_e32 v52, v52, v58
	v_add_f32_e32 v55, v55, v59
	v_fma_f32 v58, v23, s5, -v56
	v_mul_f32_e32 v59, 0x3f7ee86f, v15
	v_fmac_f32_e32 v56, 0x3dbcf732, v23
	v_add_f32_e32 v58, v58, v62
	v_mov_b32_e32 v62, v59
	v_add_f32_e32 v56, v56, v60
	v_fma_f32 v59, v17, s5, -v59
	v_mul_f32_e32 v60, 0xbeb8f4ab, v14
	v_add_f32_e32 v59, v59, v61
	v_fma_f32 v61, v23, s4, -v60
	v_fmac_f32_e32 v57, 0xbf7ba420, v17
	v_add_f32_e32 v61, v61, v64
	v_mul_f32_e32 v64, 0xbeb8f4ab, v15
	v_fmac_f32_e32 v60, 0x3f6eb680, v23
	v_mul_f32_e32 v14, 0xbf4c4adb, v14
	v_add_f32_e32 v57, v57, v66
	v_mov_b32_e32 v66, v64
	v_add_f32_e32 v60, v60, v63
	v_fma_f32 v63, v17, s4, -v64
	v_fma_f32 v64, v23, s11, -v14
	v_mul_f32_e32 v15, 0xbf4c4adb, v15
	v_add_f32_e32 v64, v64, v65
	v_mov_b32_e32 v65, v15
	v_fmac_f32_e32 v62, 0x3dbcf732, v17
	v_fmac_f32_e32 v66, 0x3f6eb680, v17
	;; [unrolled: 1-line block ×3, first 2 shown]
	v_fma_f32 v15, v17, s11, -v15
	v_add_f32_e32 v17, v11, v13
	v_sub_f32_e32 v11, v11, v13
	v_add_f32_e32 v13, v10, v12
	v_sub_f32_e32 v10, v10, v12
	v_fmac_f32_e32 v14, 0xbf1a4643, v23
	v_mul_f32_e32 v12, 0xbf4c4adb, v10
	v_add_f32_e32 v14, v14, v19
	v_add_f32_e32 v15, v15, v22
	v_fma_f32 v19, v17, s11, -v12
	v_mul_f32_e32 v22, 0xbf4c4adb, v11
	v_fmac_f32_e32 v12, 0xbf1a4643, v17
	v_mov_b32_e32 v23, v22
	v_add_f32_e32 v12, v12, v16
	v_fma_f32 v16, v13, s11, -v22
	v_mul_f32_e32 v22, 0x3f763a35, v10
	v_add_f32_e32 v19, v19, v26
	v_fmac_f32_e32 v23, 0xbf1a4643, v13
	v_add_f32_e32 v16, v16, v25
	v_fma_f32 v25, v17, s6, -v22
	v_mul_f32_e32 v26, 0x3f763a35, v11
	v_fmac_f32_e32 v22, 0xbe8c1d8e, v17
	v_add_f32_e32 v23, v23, v29
	v_mov_b32_e32 v29, v26
	v_add_f32_e32 v22, v22, v27
	v_fma_f32 v26, v13, s6, -v26
	v_mul_f32_e32 v27, 0xbeb8f4ab, v10
	v_add_f32_e32 v25, v25, v38
	v_fmac_f32_e32 v29, 0xbe8c1d8e, v13
	v_add_f32_e32 v26, v26, v39
	v_fma_f32 v38, v17, s4, -v27
	v_mul_f32_e32 v39, 0xbeb8f4ab, v11
	v_fmac_f32_e32 v27, 0x3f6eb680, v17
	v_add_f32_e32 v29, v29, v41
	;; [unrolled: 11-line block ×4, first 2 shown]
	v_mov_b32_e32 v52, v51
	v_add_f32_e32 v45, v45, v53
	v_fma_f32 v51, v13, s5, -v51
	v_mul_f32_e32 v53, 0xbf2c7751, v10
	v_add_f32_e32 v72, v72, v76
	v_add_f32_e32 v50, v50, v54
	v_fmac_f32_e32 v52, 0x3dbcf732, v13
	v_add_f32_e32 v51, v51, v55
	v_fma_f32 v54, v17, s10, -v53
	v_mul_f32_e32 v55, 0xbf2c7751, v11
	v_fmac_f32_e32 v53, 0x3f3d2fb0, v17
	v_add_f32_e32 v68, v68, v72
	v_add_f32_e32 v52, v52, v57
	v_mov_b32_e32 v57, v55
	v_add_f32_e32 v53, v53, v56
	v_fma_f32 v55, v13, s10, -v55
	v_mul_f32_e32 v56, 0xbe3c28d5, v10
	v_add_f32_e32 v62, v62, v68
	v_add_f32_e32 v54, v54, v58
	v_fmac_f32_e32 v57, 0x3f3d2fb0, v13
	v_add_f32_e32 v55, v55, v59
	v_fma_f32 v58, v17, s15, -v56
	v_mul_f32_e32 v59, 0xbe3c28d5, v11
	v_mul_f32_e32 v11, 0x3f65296c, v11
	v_add_f32_e32 v57, v57, v62
	v_add_f32_e32 v58, v58, v61
	v_mov_b32_e32 v61, v59
	v_mov_b32_e32 v62, v11
	v_fmac_f32_e32 v61, 0xbf7ba420, v13
	v_fmac_f32_e32 v56, 0xbf7ba420, v17
	v_fma_f32 v59, v13, s15, -v59
	v_mul_f32_e32 v10, 0x3f65296c, v10
	v_fmac_f32_e32 v62, 0x3ee437d1, v13
	v_fma_f32 v11, v13, s7, -v11
	v_add_f32_e32 v13, v7, v9
	v_sub_f32_e32 v7, v7, v9
	v_add_f32_e32 v9, v6, v8
	v_sub_f32_e32 v6, v6, v8
	v_add_f32_e32 v56, v56, v60
	v_fma_f32 v60, v17, s7, -v10
	v_fmac_f32_e32 v10, 0x3ee437d1, v17
	v_add_f32_e32 v11, v11, v15
	v_mul_f32_e32 v8, 0xbf06c442, v6
	v_mul_f32_e32 v15, 0xbf06c442, v7
	v_add_f32_e32 v10, v10, v14
	v_fma_f32 v14, v13, s14, -v8
	v_mov_b32_e32 v17, v15
	v_fmac_f32_e32 v8, 0xbf59a7d5, v13
	v_add_f32_e32 v75, v75, v79
	v_add_f32_e32 v14, v14, v19
	v_fmac_f32_e32 v17, 0xbf59a7d5, v9
	v_add_f32_e32 v8, v8, v12
	v_fma_f32 v12, v9, s14, -v15
	v_mul_f32_e32 v15, 0x3f65296c, v6
	v_mul_f32_e32 v19, 0x3f65296c, v7
	v_add_f32_e32 v71, v71, v75
	v_add_f32_e32 v17, v17, v23
	;; [unrolled: 1-line block ×3, first 2 shown]
	v_fma_f32 v16, v13, s7, -v15
	v_mov_b32_e32 v23, v19
	v_fmac_f32_e32 v15, 0x3ee437d1, v13
	v_add_f32_e32 v77, v77, v80
	v_add_f32_e32 v67, v67, v71
	v_fmac_f32_e32 v23, 0x3ee437d1, v9
	v_add_f32_e32 v15, v15, v22
	v_mul_f32_e32 v22, 0xbf7ee86f, v6
	v_add_f32_e32 v73, v73, v77
	v_add_f32_e32 v63, v63, v67
	;; [unrolled: 1-line block ×3, first 2 shown]
	v_fma_f32 v23, v13, s5, -v22
	v_add_f32_e32 v69, v69, v73
	v_add_f32_e32 v59, v59, v63
	;; [unrolled: 1-line block ×3, first 2 shown]
	v_mul_f32_e32 v23, 0xbf7ee86f, v7
	v_fmac_f32_e32 v22, 0x3dbcf732, v13
	v_add_f32_e32 v78, v81, v78
	v_add_f32_e32 v65, v65, v69
	;; [unrolled: 1-line block ×3, first 2 shown]
	v_fma_f32 v22, v9, s5, -v23
	v_add_f32_e32 v74, v74, v78
	v_add_f32_e32 v62, v62, v65
	;; [unrolled: 1-line block ×3, first 2 shown]
	v_mul_f32_e32 v22, 0x3f4c4adb, v6
	v_add_f32_e32 v70, v70, v74
	v_add_f32_e32 v16, v16, v25
	v_mov_b32_e32 v25, v23
	v_fma_f32 v23, v13, s11, -v22
	v_add_f32_e32 v66, v66, v70
	v_add_f32_e32 v43, v23, v43
	v_mul_f32_e32 v23, 0x3f4c4adb, v7
	v_fmac_f32_e32 v22, 0xbf1a4643, v13
	v_add_f32_e32 v61, v61, v66
	v_add_f32_e32 v66, v22, v42
	v_fma_f32 v22, v9, s11, -v23
	v_fmac_f32_e32 v25, 0x3dbcf732, v9
	v_add_f32_e32 v67, v22, v44
	v_mul_f32_e32 v22, 0xbeb8f4ab, v6
	v_add_f32_e32 v60, v60, v64
	v_add_f32_e32 v64, v25, v41
	v_mov_b32_e32 v25, v23
	v_fma_f32 v23, v13, s4, -v22
	v_add_f32_e32 v50, v23, v50
	v_mul_f32_e32 v23, 0xbeb8f4ab, v7
	v_fmac_f32_e32 v22, 0x3f6eb680, v13
	v_add_f32_e32 v45, v22, v45
	v_fma_f32 v22, v9, s4, -v23
	v_fmac_f32_e32 v25, 0xbf1a4643, v9
	v_add_f32_e32 v51, v22, v51
	v_mul_f32_e32 v22, 0xbe3c28d5, v6
	v_add_f32_e32 v49, v25, v49
	v_mov_b32_e32 v25, v23
	v_fma_f32 v23, v13, s15, -v22
	v_add_f32_e32 v54, v23, v54
	v_mul_f32_e32 v23, 0xbe3c28d5, v7
	v_fmac_f32_e32 v22, 0xbf7ba420, v13
	v_add_f32_e32 v53, v22, v53
	v_fma_f32 v22, v9, s15, -v23
	v_fmac_f32_e32 v25, 0x3f6eb680, v9
	v_add_f32_e32 v55, v22, v55
	v_mul_f32_e32 v22, 0x3f2c7751, v6
	v_add_f32_e32 v52, v25, v52
	v_mov_b32_e32 v25, v23
	v_fma_f32 v23, v13, s10, -v22
	v_add_f32_e32 v58, v23, v58
	v_mul_f32_e32 v23, 0x3f2c7751, v7
	v_fmac_f32_e32 v22, 0x3f3d2fb0, v13
	v_add_f32_e32 v56, v22, v56
	v_fma_f32 v22, v9, s10, -v23
	v_mul_f32_e32 v6, 0xbf763a35, v6
	v_add_f32_e32 v59, v22, v59
	v_fma_f32 v22, v13, s6, -v6
	v_mul_f32_e32 v7, 0xbf763a35, v7
	v_sub_f32_e32 v73, v2, v4
	v_add_f32_e32 v60, v22, v60
	v_mov_b32_e32 v22, v7
	v_add_f32_e32 v70, v3, v5
	v_add_f32_e32 v71, v2, v4
	v_mul_f32_e32 v2, 0xbe3c28d5, v73
	v_fmac_f32_e32 v22, 0xbe8c1d8e, v9
	v_sub_f32_e32 v72, v3, v5
	v_fma_f32 v3, v70, s15, -v2
	v_add_f32_e32 v62, v22, v62
	v_add_f32_e32 v22, v3, v14
	v_mul_f32_e32 v3, 0xbe3c28d5, v72
	v_fmac_f32_e32 v2, 0xbf7ba420, v70
	v_fmac_f32_e32 v25, 0xbf7ba420, v9
	v_add_f32_e32 v38, v2, v8
	v_fma_f32 v2, v71, s15, -v3
	v_add_f32_e32 v57, v25, v57
	v_mov_b32_e32 v25, v23
	v_add_f32_e32 v39, v2, v12
	v_mul_f32_e32 v2, 0x3eb8f4ab, v73
	v_fmac_f32_e32 v25, 0x3f3d2fb0, v9
	v_mov_b32_e32 v4, v3
	v_fma_f32 v3, v70, s4, -v2
	v_add_f32_e32 v61, v25, v61
	v_fmac_f32_e32 v4, 0xbf7ba420, v71
	v_add_f32_e32 v25, v3, v16
	v_mul_f32_e32 v3, 0x3eb8f4ab, v72
	v_add_f32_e32 v23, v4, v17
	v_mov_b32_e32 v4, v3
	v_fma_f32 v19, v9, s7, -v19
	v_fmac_f32_e32 v4, 0x3f6eb680, v71
	v_add_f32_e32 v19, v19, v26
	v_add_f32_e32 v26, v4, v29
	v_mul_f32_e32 v4, 0xbf06c442, v73
	v_fmac_f32_e32 v6, 0xbe8c1d8e, v13
	v_fma_f32 v5, v70, s14, -v4
	v_add_f32_e32 v68, v6, v10
	v_fma_f32 v6, v9, s6, -v7
	v_add_f32_e32 v41, v5, v63
	v_mul_f32_e32 v5, 0xbf06c442, v72
	v_add_f32_e32 v69, v6, v11
	v_mov_b32_e32 v6, v5
	v_fmac_f32_e32 v6, 0xbf59a7d5, v71
	v_add_f32_e32 v42, v6, v64
	v_mul_f32_e32 v6, 0x3f2c7751, v73
	v_fma_f32 v7, v70, s10, -v6
	v_add_f32_e32 v43, v7, v43
	v_mul_f32_e32 v7, 0x3f2c7751, v72
	v_mov_b32_e32 v8, v7
	v_fmac_f32_e32 v8, 0x3f3d2fb0, v71
	v_add_f32_e32 v44, v8, v49
	v_mul_f32_e32 v8, 0xbf4c4adb, v73
	v_fma_f32 v9, v70, s11, -v8
	v_add_f32_e32 v49, v9, v50
	v_mul_f32_e32 v9, 0xbf4c4adb, v72
	v_mov_b32_e32 v10, v9
	v_fmac_f32_e32 v10, 0xbf1a4643, v71
	v_add_f32_e32 v50, v10, v52
	v_mul_f32_e32 v10, 0x3f65296c, v73
	v_fma_f32 v9, v71, s11, -v9
	v_fma_f32 v11, v70, s7, -v10
	v_add_f32_e32 v9, v9, v51
	v_add_f32_e32 v51, v11, v54
	v_mul_f32_e32 v11, 0x3f65296c, v72
	v_mov_b32_e32 v12, v11
	v_fmac_f32_e32 v12, 0x3ee437d1, v71
	v_add_f32_e32 v52, v12, v57
	v_mul_f32_e32 v12, 0xbf763a35, v73
	v_fmac_f32_e32 v10, 0x3ee437d1, v70
	v_fma_f32 v13, v70, s6, -v12
	v_fma_f32 v3, v71, s4, -v3
	v_add_f32_e32 v10, v10, v53
	v_add_f32_e32 v53, v13, v58
	v_mul_f32_e32 v13, 0xbf763a35, v72
	v_fmac_f32_e32 v2, 0x3f6eb680, v70
	v_add_f32_e32 v3, v3, v19
	v_mov_b32_e32 v14, v13
	v_mul_f32_e32 v17, 0x3f7ee86f, v72
	v_mov_b32_e32 v19, 0x908
	v_add_f32_e32 v2, v2, v15
	v_fmac_f32_e32 v14, 0xbe8c1d8e, v71
	v_mul_f32_e32 v16, 0x3f7ee86f, v73
	v_mov_b32_e32 v15, v17
	v_cndmask_b32_e64 v19, 0, v19, s[2:3]
	v_fmac_f32_e32 v4, 0xbf59a7d5, v70
	v_fma_f32 v5, v71, s14, -v5
	v_fmac_f32_e32 v6, 0x3f3d2fb0, v70
	v_fma_f32 v7, v71, s10, -v7
	;; [unrolled: 2-line block ×3, first 2 shown]
	v_add_f32_e32 v54, v14, v61
	v_fmac_f32_e32 v12, 0xbe8c1d8e, v70
	v_fma_f32 v13, v71, s6, -v13
	v_fma_f32 v14, v70, s5, -v16
	v_fmac_f32_e32 v15, 0x3dbcf732, v71
	v_fmac_f32_e32 v16, 0x3dbcf732, v70
	v_fma_f32 v17, v71, s5, -v17
	v_add_u32_e32 v19, 0, v19
	v_add_f32_e32 v4, v4, v27
	v_add_f32_e32 v5, v5, v65
	;; [unrolled: 1-line block ×12, first 2 shown]
	v_add3_u32 v18, v19, v18, v21
	s_barrier
	ds_write2_b64 v18, v[0:1], v[22:23] offset1:17
	ds_write2_b64 v18, v[25:26], v[41:42] offset0:34 offset1:51
	ds_write2_b64 v18, v[43:44], v[49:50] offset0:68 offset1:85
	;; [unrolled: 1-line block ×7, first 2 shown]
	ds_write_b64 v18, v[38:39] offset:2176
	s_waitcnt lgkmcnt(0)
	s_barrier
	ds_read2_b64 v[0:3], v20 offset0:110 offset1:161
	ds_read2_b64 v[4:7], v47 offset0:34 offset1:68
	;; [unrolled: 1-line block ×7, first 2 shown]
	ds_read_b64 v[42:43], v40
	ds_read_b64 v[44:45], v47 offset:4216
                                        ; implicit-def: $vgpr41
	s_and_saveexec_b64 s[2:3], vcc
	s_cbranch_execz .LBB0_20
; %bb.19:
	ds_read_b64 v[38:39], v47 offset:2176
	ds_read_b64 v[40:41], v47 offset:4488
	v_add_u32_e32 v36, 0x110, v28
.LBB0_20:
	s_or_b64 exec, exec, s[2:3]
	v_mov_b32_e32 v29, s9
	v_add_co_u32_e64 v32, s[2:3], s8, v32
	v_addc_co_u32_e64 v33, s[2:3], v29, v33, s[2:3]
	v_add_co_u32_e64 v34, s[2:3], s8, v34
	global_load_dwordx2 v[32:33], v[32:33], off offset:2176
	v_addc_co_u32_e64 v35, s[2:3], v29, v35, s[2:3]
	global_load_dwordx2 v[49:50], v[34:35], off offset:2448
	global_load_dwordx2 v[51:52], v[34:35], off offset:2720
	;; [unrolled: 1-line block ×7, first 2 shown]
	v_lshl_add_u32 v29, v37, 3, v48
	s_waitcnt vmcnt(0) lgkmcnt(0)
	s_barrier
	v_mul_f32_e32 v35, v50, v17
	v_mul_f32_e32 v37, v50, v16
	;; [unrolled: 1-line block ×16, first 2 shown]
	v_fma_f32 v2, v32, v2, -v34
	v_fmac_f32_e32 v33, v32, v3
	v_fma_f32 v16, v49, v16, -v35
	v_fmac_f32_e32 v37, v49, v17
	;; [unrolled: 2-line block ×8, first 2 shown]
	v_sub_f32_e32 v2, v42, v2
	v_sub_f32_e32 v3, v43, v33
	;; [unrolled: 1-line block ×16, first 2 shown]
	v_fma_f32 v34, v42, 2.0, -v2
	v_fma_f32 v35, v43, 2.0, -v3
	;; [unrolled: 1-line block ×4, first 2 shown]
	ds_write_b64 v47, v[2:3] offset:2312
	ds_write2_b64 v47, v[34:35], v[4:5] offset1:34
	v_add_u32_e32 v2, 0x800, v29
	v_fma_f32 v6, v6, 2.0, -v18
	v_fma_f32 v7, v7, 2.0, -v19
	;; [unrolled: 1-line block ×12, first 2 shown]
	ds_write2_b64 v2, v[16:17], v[18:19] offset0:67 offset1:101
	ds_write2_b64 v47, v[6:7], v[8:9] offset0:68 offset1:102
	ds_write2_b64 v2, v[20:21], v[22:23] offset0:135 offset1:169
	ds_write2_b64 v47, v[10:11], v[12:13] offset0:136 offset1:170
	ds_write2_b64 v2, v[24:25], v[26:27] offset0:203 offset1:237
	ds_write2_b64 v47, v[14:15], v[0:1] offset0:204 offset1:238
	ds_write_b64 v29, v[32:33] offset:4216
	s_and_saveexec_b64 s[2:3], vcc
	s_cbranch_execz .LBB0_22
; %bb.21:
	v_mov_b32_e32 v37, 0
	v_lshlrev_b64 v[0:1], 3, v[36:37]
	v_mov_b32_e32 v2, s9
	v_add_co_u32_e32 v0, vcc, s8, v0
	v_addc_co_u32_e32 v1, vcc, v2, v1, vcc
	global_load_dwordx2 v[0:1], v[0:1], off offset:2176
	s_waitcnt vmcnt(0)
	v_mul_f32_e32 v2, v40, v1
	v_mul_f32_e32 v1, v41, v1
	v_fmac_f32_e32 v2, v41, v0
	v_fma_f32 v0, v40, v0, -v1
	v_sub_f32_e32 v1, v39, v2
	v_sub_f32_e32 v0, v38, v0
	v_fma_f32 v3, v39, 2.0, -v1
	v_fma_f32 v2, v38, 2.0, -v0
	ds_write_b64 v47, v[2:3] offset:2176
	ds_write_b64 v47, v[0:1] offset:4488
.LBB0_22:
	s_or_b64 exec, exec, s[2:3]
	s_waitcnt lgkmcnt(0)
	s_barrier
	s_and_saveexec_b64 s[2:3], s[0:1]
	s_cbranch_execz .LBB0_24
; %bb.23:
	v_lshl_add_u32 v6, v28, 3, v46
	v_mov_b32_e32 v29, 0
	ds_read2_b64 v[0:3], v6 offset1:34
	v_mov_b32_e32 v4, s13
	v_add_co_u32_e32 v7, vcc, s12, v30
	v_addc_co_u32_e32 v8, vcc, v4, v31, vcc
	v_lshlrev_b64 v[4:5], 3, v[28:29]
	v_add_u32_e32 v9, 0x800, v6
	v_add_co_u32_e32 v4, vcc, v7, v4
	v_addc_co_u32_e32 v5, vcc, v8, v5, vcc
	s_waitcnt lgkmcnt(0)
	global_store_dwordx2 v[4:5], v[0:1], off
	v_add_u32_e32 v0, 34, v28
	v_mov_b32_e32 v1, v29
	v_lshlrev_b64 v[0:1], 3, v[0:1]
	v_add_u32_e32 v4, 0x44, v28
	v_add_co_u32_e32 v0, vcc, v7, v0
	v_addc_co_u32_e32 v1, vcc, v8, v1, vcc
	global_store_dwordx2 v[0:1], v[2:3], off
	v_mov_b32_e32 v5, v29
	ds_read2_b64 v[0:3], v6 offset0:68 offset1:102
	v_lshlrev_b64 v[4:5], 3, v[4:5]
	v_add_co_u32_e32 v4, vcc, v7, v4
	v_addc_co_u32_e32 v5, vcc, v8, v5, vcc
	s_waitcnt lgkmcnt(0)
	global_store_dwordx2 v[4:5], v[0:1], off
	v_add_u32_e32 v0, 0x66, v28
	v_mov_b32_e32 v1, v29
	v_lshlrev_b64 v[0:1], 3, v[0:1]
	v_add_u32_e32 v4, 0x88, v28
	v_add_co_u32_e32 v0, vcc, v7, v0
	v_addc_co_u32_e32 v1, vcc, v8, v1, vcc
	global_store_dwordx2 v[0:1], v[2:3], off
	v_mov_b32_e32 v5, v29
	ds_read2_b64 v[0:3], v6 offset0:136 offset1:170
	v_lshlrev_b64 v[4:5], 3, v[4:5]
	;; [unrolled: 14-line block ×7, first 2 shown]
	v_add_co_u32_e32 v4, vcc, v7, v4
	v_addc_co_u32_e32 v5, vcc, v8, v5, vcc
	s_waitcnt lgkmcnt(0)
	global_store_dwordx2 v[4:5], v[0:1], off
	v_add_u32_e32 v0, 0x1fe, v28
	v_mov_b32_e32 v1, v29
	v_lshlrev_b64 v[0:1], 3, v[0:1]
	v_add_u32_e32 v28, 0x220, v28
	v_add_co_u32_e32 v0, vcc, v7, v0
	v_addc_co_u32_e32 v1, vcc, v8, v1, vcc
	global_store_dwordx2 v[0:1], v[2:3], off
	ds_read_b64 v[0:1], v6 offset:4352
	v_lshlrev_b64 v[2:3], 3, v[28:29]
	v_add_co_u32_e32 v2, vcc, v7, v2
	v_addc_co_u32_e32 v3, vcc, v8, v3, vcc
	s_waitcnt lgkmcnt(0)
	global_store_dwordx2 v[2:3], v[0:1], off
.LBB0_24:
	s_endpgm
	.section	.rodata,"a",@progbits
	.p2align	6, 0x0
	.amdhsa_kernel fft_rtc_fwd_len578_factors_17_17_2_wgs_238_tpt_34_halfLds_sp_ip_CI_unitstride_sbrr_C2R_dirReg
		.amdhsa_group_segment_fixed_size 0
		.amdhsa_private_segment_fixed_size 0
		.amdhsa_kernarg_size 88
		.amdhsa_user_sgpr_count 6
		.amdhsa_user_sgpr_private_segment_buffer 1
		.amdhsa_user_sgpr_dispatch_ptr 0
		.amdhsa_user_sgpr_queue_ptr 0
		.amdhsa_user_sgpr_kernarg_segment_ptr 1
		.amdhsa_user_sgpr_dispatch_id 0
		.amdhsa_user_sgpr_flat_scratch_init 0
		.amdhsa_user_sgpr_private_segment_size 0
		.amdhsa_uses_dynamic_stack 0
		.amdhsa_system_sgpr_private_segment_wavefront_offset 0
		.amdhsa_system_sgpr_workgroup_id_x 1
		.amdhsa_system_sgpr_workgroup_id_y 0
		.amdhsa_system_sgpr_workgroup_id_z 0
		.amdhsa_system_sgpr_workgroup_info 0
		.amdhsa_system_vgpr_workitem_id 0
		.amdhsa_next_free_vgpr 82
		.amdhsa_next_free_sgpr 22
		.amdhsa_reserve_vcc 1
		.amdhsa_reserve_flat_scratch 0
		.amdhsa_float_round_mode_32 0
		.amdhsa_float_round_mode_16_64 0
		.amdhsa_float_denorm_mode_32 3
		.amdhsa_float_denorm_mode_16_64 3
		.amdhsa_dx10_clamp 1
		.amdhsa_ieee_mode 1
		.amdhsa_fp16_overflow 0
		.amdhsa_exception_fp_ieee_invalid_op 0
		.amdhsa_exception_fp_denorm_src 0
		.amdhsa_exception_fp_ieee_div_zero 0
		.amdhsa_exception_fp_ieee_overflow 0
		.amdhsa_exception_fp_ieee_underflow 0
		.amdhsa_exception_fp_ieee_inexact 0
		.amdhsa_exception_int_div_zero 0
	.end_amdhsa_kernel
	.text
.Lfunc_end0:
	.size	fft_rtc_fwd_len578_factors_17_17_2_wgs_238_tpt_34_halfLds_sp_ip_CI_unitstride_sbrr_C2R_dirReg, .Lfunc_end0-fft_rtc_fwd_len578_factors_17_17_2_wgs_238_tpt_34_halfLds_sp_ip_CI_unitstride_sbrr_C2R_dirReg
                                        ; -- End function
	.section	.AMDGPU.csdata,"",@progbits
; Kernel info:
; codeLenInByte = 14520
; NumSgprs: 26
; NumVgprs: 82
; ScratchSize: 0
; MemoryBound: 0
; FloatMode: 240
; IeeeMode: 1
; LDSByteSize: 0 bytes/workgroup (compile time only)
; SGPRBlocks: 3
; VGPRBlocks: 20
; NumSGPRsForWavesPerEU: 26
; NumVGPRsForWavesPerEU: 82
; Occupancy: 3
; WaveLimiterHint : 1
; COMPUTE_PGM_RSRC2:SCRATCH_EN: 0
; COMPUTE_PGM_RSRC2:USER_SGPR: 6
; COMPUTE_PGM_RSRC2:TRAP_HANDLER: 0
; COMPUTE_PGM_RSRC2:TGID_X_EN: 1
; COMPUTE_PGM_RSRC2:TGID_Y_EN: 0
; COMPUTE_PGM_RSRC2:TGID_Z_EN: 0
; COMPUTE_PGM_RSRC2:TIDIG_COMP_CNT: 0
	.type	__hip_cuid_c62a790fdc8a3902,@object ; @__hip_cuid_c62a790fdc8a3902
	.section	.bss,"aw",@nobits
	.globl	__hip_cuid_c62a790fdc8a3902
__hip_cuid_c62a790fdc8a3902:
	.byte	0                               ; 0x0
	.size	__hip_cuid_c62a790fdc8a3902, 1

	.ident	"AMD clang version 19.0.0git (https://github.com/RadeonOpenCompute/llvm-project roc-6.4.0 25133 c7fe45cf4b819c5991fe208aaa96edf142730f1d)"
	.section	".note.GNU-stack","",@progbits
	.addrsig
	.addrsig_sym __hip_cuid_c62a790fdc8a3902
	.amdgpu_metadata
---
amdhsa.kernels:
  - .args:
      - .actual_access:  read_only
        .address_space:  global
        .offset:         0
        .size:           8
        .value_kind:     global_buffer
      - .offset:         8
        .size:           8
        .value_kind:     by_value
      - .actual_access:  read_only
        .address_space:  global
        .offset:         16
        .size:           8
        .value_kind:     global_buffer
      - .actual_access:  read_only
        .address_space:  global
        .offset:         24
        .size:           8
        .value_kind:     global_buffer
      - .offset:         32
        .size:           8
        .value_kind:     by_value
      - .actual_access:  read_only
        .address_space:  global
        .offset:         40
        .size:           8
        .value_kind:     global_buffer
      - .actual_access:  read_only
        .address_space:  global
        .offset:         48
        .size:           8
        .value_kind:     global_buffer
      - .offset:         56
        .size:           4
        .value_kind:     by_value
      - .actual_access:  read_only
        .address_space:  global
        .offset:         64
        .size:           8
        .value_kind:     global_buffer
      - .actual_access:  read_only
        .address_space:  global
        .offset:         72
        .size:           8
        .value_kind:     global_buffer
      - .address_space:  global
        .offset:         80
        .size:           8
        .value_kind:     global_buffer
    .group_segment_fixed_size: 0
    .kernarg_segment_align: 8
    .kernarg_segment_size: 88
    .language:       OpenCL C
    .language_version:
      - 2
      - 0
    .max_flat_workgroup_size: 238
    .name:           fft_rtc_fwd_len578_factors_17_17_2_wgs_238_tpt_34_halfLds_sp_ip_CI_unitstride_sbrr_C2R_dirReg
    .private_segment_fixed_size: 0
    .sgpr_count:     26
    .sgpr_spill_count: 0
    .symbol:         fft_rtc_fwd_len578_factors_17_17_2_wgs_238_tpt_34_halfLds_sp_ip_CI_unitstride_sbrr_C2R_dirReg.kd
    .uniform_work_group_size: 1
    .uses_dynamic_stack: false
    .vgpr_count:     82
    .vgpr_spill_count: 0
    .wavefront_size: 64
amdhsa.target:   amdgcn-amd-amdhsa--gfx906
amdhsa.version:
  - 1
  - 2
...

	.end_amdgpu_metadata
